;; amdgpu-corpus repo=ROCm/rocFFT kind=compiled arch=gfx1201 opt=O3
	.text
	.amdgcn_target "amdgcn-amd-amdhsa--gfx1201"
	.amdhsa_code_object_version 6
	.protected	fft_rtc_back_len1960_factors_4_7_2_7_5_wgs_56_tpt_56_halfLds_dp_op_CI_CI_sbrr_dirReg ; -- Begin function fft_rtc_back_len1960_factors_4_7_2_7_5_wgs_56_tpt_56_halfLds_dp_op_CI_CI_sbrr_dirReg
	.globl	fft_rtc_back_len1960_factors_4_7_2_7_5_wgs_56_tpt_56_halfLds_dp_op_CI_CI_sbrr_dirReg
	.p2align	8
	.type	fft_rtc_back_len1960_factors_4_7_2_7_5_wgs_56_tpt_56_halfLds_dp_op_CI_CI_sbrr_dirReg,@function
fft_rtc_back_len1960_factors_4_7_2_7_5_wgs_56_tpt_56_halfLds_dp_op_CI_CI_sbrr_dirReg: ; @fft_rtc_back_len1960_factors_4_7_2_7_5_wgs_56_tpt_56_halfLds_dp_op_CI_CI_sbrr_dirReg
; %bb.0:
	s_clause 0x2
	s_load_b128 s[12:15], s[0:1], 0x18
	s_load_b128 s[8:11], s[0:1], 0x0
	;; [unrolled: 1-line block ×3, first 2 shown]
	v_mul_u32_u24_e32 v1, 0x493, v0
	v_mov_b32_e32 v3, 0
	s_wait_kmcnt 0x0
	s_load_b64 s[18:19], s[12:13], 0x0
	s_load_b64 s[16:17], s[14:15], 0x0
	v_lshrrev_b32_e32 v1, 16, v1
	v_cmp_lt_u64_e64 s2, s[10:11], 2
	s_delay_alu instid0(VALU_DEP_2)
	v_add_nc_u32_e32 v5, ttmp9, v1
	v_mov_b32_e32 v1, 0
	v_mov_b32_e32 v2, 0
	;; [unrolled: 1-line block ×3, first 2 shown]
	s_and_b32 vcc_lo, exec_lo, s2
	s_cbranch_vccnz .LBB0_8
; %bb.1:
	s_load_b64 s[2:3], s[0:1], 0x10
	v_mov_b32_e32 v1, 0
	v_mov_b32_e32 v2, 0
	s_add_nc_u64 s[20:21], s[14:15], 8
	s_add_nc_u64 s[22:23], s[12:13], 8
	s_mov_b64 s[24:25], 1
	s_delay_alu instid0(VALU_DEP_1)
	v_dual_mov_b32 v177, v2 :: v_dual_mov_b32 v176, v1
	s_wait_kmcnt 0x0
	s_add_nc_u64 s[26:27], s[2:3], 8
	s_mov_b32 s3, 0
.LBB0_2:                                ; =>This Inner Loop Header: Depth=1
	s_load_b64 s[28:29], s[26:27], 0x0
                                        ; implicit-def: $vgpr178_vgpr179
	s_mov_b32 s2, exec_lo
	s_wait_kmcnt 0x0
	v_or_b32_e32 v4, s29, v6
	s_delay_alu instid0(VALU_DEP_1)
	v_cmpx_ne_u64_e32 0, v[3:4]
	s_wait_alu 0xfffe
	s_xor_b32 s30, exec_lo, s2
	s_cbranch_execz .LBB0_4
; %bb.3:                                ;   in Loop: Header=BB0_2 Depth=1
	s_cvt_f32_u32 s2, s28
	s_cvt_f32_u32 s31, s29
	s_sub_nc_u64 s[36:37], 0, s[28:29]
	s_wait_alu 0xfffe
	s_delay_alu instid0(SALU_CYCLE_1) | instskip(SKIP_1) | instid1(SALU_CYCLE_2)
	s_fmamk_f32 s2, s31, 0x4f800000, s2
	s_wait_alu 0xfffe
	v_s_rcp_f32 s2, s2
	s_delay_alu instid0(TRANS32_DEP_1) | instskip(SKIP_1) | instid1(SALU_CYCLE_2)
	s_mul_f32 s2, s2, 0x5f7ffffc
	s_wait_alu 0xfffe
	s_mul_f32 s31, s2, 0x2f800000
	s_wait_alu 0xfffe
	s_delay_alu instid0(SALU_CYCLE_2) | instskip(SKIP_1) | instid1(SALU_CYCLE_2)
	s_trunc_f32 s31, s31
	s_wait_alu 0xfffe
	s_fmamk_f32 s2, s31, 0xcf800000, s2
	s_cvt_u32_f32 s35, s31
	s_wait_alu 0xfffe
	s_delay_alu instid0(SALU_CYCLE_1) | instskip(SKIP_1) | instid1(SALU_CYCLE_2)
	s_cvt_u32_f32 s34, s2
	s_wait_alu 0xfffe
	s_mul_u64 s[38:39], s[36:37], s[34:35]
	s_wait_alu 0xfffe
	s_mul_hi_u32 s41, s34, s39
	s_mul_i32 s40, s34, s39
	s_mul_hi_u32 s2, s34, s38
	s_mul_i32 s33, s35, s38
	s_wait_alu 0xfffe
	s_add_nc_u64 s[40:41], s[2:3], s[40:41]
	s_mul_hi_u32 s31, s35, s38
	s_mul_hi_u32 s42, s35, s39
	s_add_co_u32 s2, s40, s33
	s_wait_alu 0xfffe
	s_add_co_ci_u32 s2, s41, s31
	s_mul_i32 s38, s35, s39
	s_add_co_ci_u32 s39, s42, 0
	s_wait_alu 0xfffe
	s_add_nc_u64 s[38:39], s[2:3], s[38:39]
	s_wait_alu 0xfffe
	v_add_co_u32 v4, s2, s34, s38
	s_delay_alu instid0(VALU_DEP_1) | instskip(SKIP_1) | instid1(VALU_DEP_1)
	s_cmp_lg_u32 s2, 0
	s_add_co_ci_u32 s35, s35, s39
	v_readfirstlane_b32 s34, v4
	s_wait_alu 0xfffe
	s_delay_alu instid0(VALU_DEP_1)
	s_mul_u64 s[36:37], s[36:37], s[34:35]
	s_wait_alu 0xfffe
	s_mul_hi_u32 s39, s34, s37
	s_mul_i32 s38, s34, s37
	s_mul_hi_u32 s2, s34, s36
	s_mul_i32 s33, s35, s36
	s_wait_alu 0xfffe
	s_add_nc_u64 s[38:39], s[2:3], s[38:39]
	s_mul_hi_u32 s31, s35, s36
	s_mul_hi_u32 s34, s35, s37
	s_wait_alu 0xfffe
	s_add_co_u32 s2, s38, s33
	s_add_co_ci_u32 s2, s39, s31
	s_mul_i32 s36, s35, s37
	s_add_co_ci_u32 s37, s34, 0
	s_wait_alu 0xfffe
	s_add_nc_u64 s[36:37], s[2:3], s[36:37]
	s_wait_alu 0xfffe
	v_add_co_u32 v4, s2, v4, s36
	s_delay_alu instid0(VALU_DEP_1) | instskip(SKIP_1) | instid1(VALU_DEP_1)
	s_cmp_lg_u32 s2, 0
	s_add_co_ci_u32 s2, s35, s37
	v_mul_hi_u32 v13, v5, v4
	s_wait_alu 0xfffe
	v_mad_co_u64_u32 v[7:8], null, v5, s2, 0
	v_mad_co_u64_u32 v[9:10], null, v6, v4, 0
	;; [unrolled: 1-line block ×3, first 2 shown]
	s_delay_alu instid0(VALU_DEP_3) | instskip(SKIP_1) | instid1(VALU_DEP_4)
	v_add_co_u32 v4, vcc_lo, v13, v7
	s_wait_alu 0xfffd
	v_add_co_ci_u32_e32 v7, vcc_lo, 0, v8, vcc_lo
	s_delay_alu instid0(VALU_DEP_2) | instskip(SKIP_1) | instid1(VALU_DEP_2)
	v_add_co_u32 v4, vcc_lo, v4, v9
	s_wait_alu 0xfffd
	v_add_co_ci_u32_e32 v4, vcc_lo, v7, v10, vcc_lo
	s_wait_alu 0xfffd
	v_add_co_ci_u32_e32 v7, vcc_lo, 0, v12, vcc_lo
	s_delay_alu instid0(VALU_DEP_2) | instskip(SKIP_1) | instid1(VALU_DEP_2)
	v_add_co_u32 v4, vcc_lo, v4, v11
	s_wait_alu 0xfffd
	v_add_co_ci_u32_e32 v9, vcc_lo, 0, v7, vcc_lo
	s_delay_alu instid0(VALU_DEP_2) | instskip(SKIP_1) | instid1(VALU_DEP_3)
	v_mul_lo_u32 v10, s29, v4
	v_mad_co_u64_u32 v[7:8], null, s28, v4, 0
	v_mul_lo_u32 v11, s28, v9
	s_delay_alu instid0(VALU_DEP_2) | instskip(NEXT) | instid1(VALU_DEP_2)
	v_sub_co_u32 v7, vcc_lo, v5, v7
	v_add3_u32 v8, v8, v11, v10
	s_delay_alu instid0(VALU_DEP_1) | instskip(SKIP_1) | instid1(VALU_DEP_1)
	v_sub_nc_u32_e32 v10, v6, v8
	s_wait_alu 0xfffd
	v_subrev_co_ci_u32_e64 v10, s2, s29, v10, vcc_lo
	v_add_co_u32 v11, s2, v4, 2
	s_wait_alu 0xf1ff
	v_add_co_ci_u32_e64 v12, s2, 0, v9, s2
	v_sub_co_u32 v13, s2, v7, s28
	v_sub_co_ci_u32_e32 v8, vcc_lo, v6, v8, vcc_lo
	s_wait_alu 0xf1ff
	v_subrev_co_ci_u32_e64 v10, s2, 0, v10, s2
	s_delay_alu instid0(VALU_DEP_3) | instskip(NEXT) | instid1(VALU_DEP_3)
	v_cmp_le_u32_e32 vcc_lo, s28, v13
	v_cmp_eq_u32_e64 s2, s29, v8
	s_wait_alu 0xfffd
	v_cndmask_b32_e64 v13, 0, -1, vcc_lo
	v_cmp_le_u32_e32 vcc_lo, s29, v10
	s_wait_alu 0xfffd
	v_cndmask_b32_e64 v14, 0, -1, vcc_lo
	v_cmp_le_u32_e32 vcc_lo, s28, v7
	;; [unrolled: 3-line block ×3, first 2 shown]
	s_wait_alu 0xfffd
	v_cndmask_b32_e64 v15, 0, -1, vcc_lo
	v_cmp_eq_u32_e32 vcc_lo, s29, v10
	s_wait_alu 0xf1ff
	s_delay_alu instid0(VALU_DEP_2)
	v_cndmask_b32_e64 v7, v15, v7, s2
	s_wait_alu 0xfffd
	v_cndmask_b32_e32 v10, v14, v13, vcc_lo
	v_add_co_u32 v13, vcc_lo, v4, 1
	s_wait_alu 0xfffd
	v_add_co_ci_u32_e32 v14, vcc_lo, 0, v9, vcc_lo
	s_delay_alu instid0(VALU_DEP_3) | instskip(SKIP_1) | instid1(VALU_DEP_2)
	v_cmp_ne_u32_e32 vcc_lo, 0, v10
	s_wait_alu 0xfffd
	v_cndmask_b32_e32 v8, v14, v12, vcc_lo
	v_cndmask_b32_e32 v10, v13, v11, vcc_lo
	v_cmp_ne_u32_e32 vcc_lo, 0, v7
	s_wait_alu 0xfffd
	s_delay_alu instid0(VALU_DEP_2)
	v_dual_cndmask_b32 v179, v9, v8 :: v_dual_cndmask_b32 v178, v4, v10
.LBB0_4:                                ;   in Loop: Header=BB0_2 Depth=1
	s_wait_alu 0xfffe
	s_and_not1_saveexec_b32 s2, s30
	s_cbranch_execz .LBB0_6
; %bb.5:                                ;   in Loop: Header=BB0_2 Depth=1
	v_cvt_f32_u32_e32 v4, s28
	s_sub_co_i32 s30, 0, s28
	v_mov_b32_e32 v179, v3
	s_delay_alu instid0(VALU_DEP_2) | instskip(NEXT) | instid1(TRANS32_DEP_1)
	v_rcp_iflag_f32_e32 v4, v4
	v_mul_f32_e32 v4, 0x4f7ffffe, v4
	s_delay_alu instid0(VALU_DEP_1) | instskip(SKIP_1) | instid1(VALU_DEP_1)
	v_cvt_u32_f32_e32 v4, v4
	s_wait_alu 0xfffe
	v_mul_lo_u32 v7, s30, v4
	s_delay_alu instid0(VALU_DEP_1) | instskip(NEXT) | instid1(VALU_DEP_1)
	v_mul_hi_u32 v7, v4, v7
	v_add_nc_u32_e32 v4, v4, v7
	s_delay_alu instid0(VALU_DEP_1) | instskip(NEXT) | instid1(VALU_DEP_1)
	v_mul_hi_u32 v4, v5, v4
	v_mul_lo_u32 v7, v4, s28
	v_add_nc_u32_e32 v8, 1, v4
	s_delay_alu instid0(VALU_DEP_2) | instskip(NEXT) | instid1(VALU_DEP_1)
	v_sub_nc_u32_e32 v7, v5, v7
	v_subrev_nc_u32_e32 v9, s28, v7
	v_cmp_le_u32_e32 vcc_lo, s28, v7
	s_wait_alu 0xfffd
	s_delay_alu instid0(VALU_DEP_2) | instskip(NEXT) | instid1(VALU_DEP_1)
	v_dual_cndmask_b32 v7, v7, v9 :: v_dual_cndmask_b32 v4, v4, v8
	v_cmp_le_u32_e32 vcc_lo, s28, v7
	s_delay_alu instid0(VALU_DEP_2) | instskip(SKIP_1) | instid1(VALU_DEP_1)
	v_add_nc_u32_e32 v8, 1, v4
	s_wait_alu 0xfffd
	v_cndmask_b32_e32 v178, v4, v8, vcc_lo
.LBB0_6:                                ;   in Loop: Header=BB0_2 Depth=1
	s_wait_alu 0xfffe
	s_or_b32 exec_lo, exec_lo, s2
	v_mul_lo_u32 v4, v179, s28
	s_delay_alu instid0(VALU_DEP_2)
	v_mul_lo_u32 v9, v178, s29
	s_load_b64 s[30:31], s[22:23], 0x0
	v_mad_co_u64_u32 v[7:8], null, v178, s28, 0
	s_load_b64 s[28:29], s[20:21], 0x0
	s_add_nc_u64 s[24:25], s[24:25], 1
	s_add_nc_u64 s[20:21], s[20:21], 8
	s_wait_alu 0xfffe
	v_cmp_ge_u64_e64 s2, s[24:25], s[10:11]
	s_add_nc_u64 s[22:23], s[22:23], 8
	s_add_nc_u64 s[26:27], s[26:27], 8
	v_add3_u32 v4, v8, v9, v4
	v_sub_co_u32 v5, vcc_lo, v5, v7
	s_wait_alu 0xfffd
	s_delay_alu instid0(VALU_DEP_2) | instskip(SKIP_2) | instid1(VALU_DEP_1)
	v_sub_co_ci_u32_e32 v4, vcc_lo, v6, v4, vcc_lo
	s_and_b32 vcc_lo, exec_lo, s2
	s_wait_kmcnt 0x0
	v_mul_lo_u32 v6, s30, v4
	v_mul_lo_u32 v7, s31, v5
	v_mad_co_u64_u32 v[1:2], null, s30, v5, v[1:2]
	v_mul_lo_u32 v4, s28, v4
	v_mul_lo_u32 v8, s29, v5
	v_mad_co_u64_u32 v[176:177], null, s28, v5, v[176:177]
	s_delay_alu instid0(VALU_DEP_4) | instskip(NEXT) | instid1(VALU_DEP_2)
	v_add3_u32 v2, v7, v2, v6
	v_add3_u32 v177, v8, v177, v4
	s_wait_alu 0xfffe
	s_cbranch_vccnz .LBB0_9
; %bb.7:                                ;   in Loop: Header=BB0_2 Depth=1
	v_dual_mov_b32 v5, v178 :: v_dual_mov_b32 v6, v179
	s_branch .LBB0_2
.LBB0_8:
	s_delay_alu instid0(VALU_DEP_2) | instskip(NEXT) | instid1(VALU_DEP_2)
	v_dual_mov_b32 v177, v2 :: v_dual_mov_b32 v176, v1
	v_dual_mov_b32 v179, v6 :: v_dual_mov_b32 v178, v5
.LBB0_9:
	s_load_b64 s[0:1], s[0:1], 0x28
	v_mul_hi_u32 v3, 0x4924925, v0
	s_lshl_b64 s[10:11], s[10:11], 3
                                        ; implicit-def: $vgpr218
                                        ; implicit-def: $vgpr208
                                        ; implicit-def: $vgpr209
                                        ; implicit-def: $vgpr210
                                        ; implicit-def: $vgpr211
                                        ; implicit-def: $vgpr4
                                        ; kill: killed $vgpr4
                                        ; implicit-def: $vgpr212
                                        ; implicit-def: $vgpr213
                                        ; implicit-def: $vgpr214
	s_wait_alu 0xfffe
	s_add_nc_u64 s[2:3], s[14:15], s[10:11]
	s_wait_kmcnt 0x0
	v_cmp_gt_u64_e32 vcc_lo, s[0:1], v[178:179]
	v_cmp_le_u64_e64 s0, s[0:1], v[178:179]
	s_delay_alu instid0(VALU_DEP_1)
	s_and_saveexec_b32 s1, s0
	s_wait_alu 0xfffe
	s_xor_b32 s0, exec_lo, s1
	s_cbranch_execz .LBB0_11
; %bb.10:
	v_mul_u32_u24_e32 v1, 56, v3
                                        ; implicit-def: $vgpr3
	s_delay_alu instid0(VALU_DEP_1) | instskip(NEXT) | instid1(VALU_DEP_1)
	v_sub_nc_u32_e32 v218, v0, v1
                                        ; implicit-def: $vgpr1_vgpr2
	v_add_nc_u32_e32 v208, 56, v218
	v_add_nc_u32_e32 v209, 0x70, v218
	;; [unrolled: 1-line block ×7, first 2 shown]
	v_or_b32_e32 v214, 0x1c0, v218
	scratch_store_b32 off, v0, off          ; 4-byte Folded Spill
                                        ; implicit-def: $vgpr0
.LBB0_11:
	s_wait_alu 0xfffe
	s_or_saveexec_b32 s1, s0
	s_load_b64 s[2:3], s[2:3], 0x0
                                        ; implicit-def: $vgpr4_vgpr5
                                        ; implicit-def: $vgpr12_vgpr13
                                        ; implicit-def: $vgpr28_vgpr29
                                        ; implicit-def: $vgpr44_vgpr45
                                        ; implicit-def: $vgpr36_vgpr37
                                        ; implicit-def: $vgpr52_vgpr53
                                        ; implicit-def: $vgpr40_vgpr41
                                        ; implicit-def: $vgpr60_vgpr61
                                        ; implicit-def: $vgpr48_vgpr49
                                        ; implicit-def: $vgpr72_vgpr73
                                        ; implicit-def: $vgpr56_vgpr57
                                        ; implicit-def: $vgpr100_vgpr101
                                        ; implicit-def: $vgpr64_vgpr65
                                        ; implicit-def: $vgpr104_vgpr105
                                        ; implicit-def: $vgpr68_vgpr69
                                        ; implicit-def: $vgpr108_vgpr109
                                        ; implicit-def: $vgpr24_vgpr25
                                        ; implicit-def: $vgpr112_vgpr113
                                        ; implicit-def: $vgpr144_vgpr145
                                        ; implicit-def: $vgpr20_vgpr21
                                        ; implicit-def: $vgpr140_vgpr141
                                        ; implicit-def: $vgpr96_vgpr97
                                        ; implicit-def: $vgpr136_vgpr137
                                        ; implicit-def: $vgpr92_vgpr93
                                        ; implicit-def: $vgpr132_vgpr133
                                        ; implicit-def: $vgpr88_vgpr89
                                        ; implicit-def: $vgpr128_vgpr129
                                        ; implicit-def: $vgpr84_vgpr85
                                        ; implicit-def: $vgpr124_vgpr125
                                        ; implicit-def: $vgpr80_vgpr81
                                        ; implicit-def: $vgpr120_vgpr121
                                        ; implicit-def: $vgpr76_vgpr77
                                        ; implicit-def: $vgpr116_vgpr117
                                        ; implicit-def: $vgpr32_vgpr33
                                        ; implicit-def: $vgpr16_vgpr17
                                        ; implicit-def: $vgpr8_vgpr9
	s_xor_b32 exec_lo, exec_lo, s1
	s_cbranch_execz .LBB0_15
; %bb.12:
	s_add_nc_u64 s[10:11], s[12:13], s[10:11]
	v_mul_u32_u24_e32 v3, 56, v3
	s_load_b64 s[10:11], s[10:11], 0x0
                                        ; implicit-def: $vgpr142_vgpr143
	s_delay_alu instid0(VALU_DEP_1) | instskip(SKIP_1) | instid1(VALU_DEP_2)
	v_sub_nc_u32_e32 v218, v0, v3
	v_lshlrev_b64_e32 v[0:1], 4, v[1:2]
	v_add_nc_u32_e32 v208, 56, v218
	v_add_nc_u32_e32 v14, 0x1ea, v218
	v_mad_co_u64_u32 v[2:3], null, s18, v218, 0
	v_add_nc_u32_e32 v39, 0x62e, v218
	s_delay_alu instid0(VALU_DEP_4)
	v_mad_co_u64_u32 v[18:19], null, s18, v208, 0
	v_add_nc_u32_e32 v15, 0x3d4, v218
	v_mad_co_u64_u32 v[4:5], null, s18, v14, 0
	v_add_nc_u32_e32 v212, 0x150, v218
	s_wait_kmcnt 0x0
	v_mul_lo_u32 v17, s11, v178
	v_mad_co_u64_u32 v[6:7], null, s18, v15, 0
	v_mul_lo_u32 v20, s10, v179
	v_mad_co_u64_u32 v[8:9], null, s10, v178, 0
	v_add_nc_u32_e32 v16, 0x5be, v218
	v_mad_co_u64_u32 v[12:13], null, s19, v218, v[3:4]
	v_mov_b32_e32 v3, v5
	v_mov_b32_e32 v5, v7
	s_delay_alu instid0(VALU_DEP_4) | instskip(SKIP_1) | instid1(VALU_DEP_4)
	v_mad_co_u64_u32 v[10:11], null, s18, v16, 0
	v_add3_u32 v9, v9, v20, v17
	v_mad_co_u64_u32 v[13:14], null, s19, v14, v[3:4]
	v_dual_mov_b32 v3, v12 :: v_dual_add_nc_u32 v28, 0x40c, v218
	s_delay_alu instid0(VALU_DEP_3) | instskip(SKIP_3) | instid1(VALU_DEP_3)
	v_lshlrev_b64_e32 v[8:9], 4, v[8:9]
	v_mov_b32_e32 v7, v11
	v_mad_co_u64_u32 v[11:12], null, s19, v15, v[5:6]
	v_dual_mov_b32 v5, v13 :: v_dual_add_nc_u32 v12, 0x222, v218
	v_mad_co_u64_u32 v[14:15], null, s19, v16, v[7:8]
	v_add_co_u32 v7, s0, s4, v8
	s_wait_alu 0xf1ff
	v_add_co_ci_u32_e64 v8, s0, s5, v9, s0
	v_mad_co_u64_u32 v[22:23], null, s18, v12, 0
	s_delay_alu instid0(VALU_DEP_3)
	v_add_co_u32 v20, s0, v7, v0
	v_mov_b32_e32 v7, v11
	v_lshlrev_b64_e32 v[2:3], 4, v[2:3]
	s_wait_alu 0xf1ff
	v_add_co_ci_u32_e64 v21, s0, v8, v1, s0
	v_lshlrev_b64_e32 v[0:1], 4, v[4:5]
	v_lshlrev_b64_e32 v[5:6], 4, v[6:7]
	v_dual_mov_b32 v11, v14 :: v_dual_add_nc_u32 v30, 0x5f6, v218
	v_mov_b32_e32 v4, v19
	v_add_co_u32 v2, s0, v20, v2
	s_delay_alu instid0(VALU_DEP_3)
	v_lshlrev_b64_e32 v[7:8], 4, v[10:11]
	s_wait_alu 0xf1ff
	v_add_co_ci_u32_e64 v3, s0, v21, v3, s0
	v_mad_co_u64_u32 v[9:10], null, s19, v208, v[4:5]
	v_mov_b32_e32 v4, v23
	v_add_co_u32 v0, s0, v20, v0
	s_wait_alu 0xf1ff
	v_add_co_ci_u32_e64 v1, s0, v21, v1, s0
	v_mad_co_u64_u32 v[24:25], null, s18, v28, 0
	v_mad_co_u64_u32 v[26:27], null, s19, v12, v[4:5]
	v_add_co_u32 v10, s0, v20, v5
	s_wait_alu 0xf1ff
	v_add_co_ci_u32_e64 v11, s0, v21, v6, s0
	v_mov_b32_e32 v19, v9
	v_add_co_u32 v14, s0, v20, v7
	s_wait_alu 0xf1ff
	v_add_co_ci_u32_e64 v15, s0, v21, v8, s0
	s_clause 0x3
	global_load_b128 v[6:9], v[2:3], off
	global_load_b128 v[2:5], v[0:1], off
	;; [unrolled: 1-line block ×4, first 2 shown]
	v_lshlrev_b64_e32 v[0:1], 4, v[18:19]
	v_dual_mov_b32 v18, v25 :: v_dual_mov_b32 v23, v26
	v_add_nc_u32_e32 v34, 0x25a, v218
	v_mad_co_u64_u32 v[26:27], null, s18, v30, 0
	s_delay_alu instid0(VALU_DEP_3)
	v_mad_co_u64_u32 v[18:19], null, s19, v28, v[18:19]
	v_add_nc_u32_e32 v36, 0x444, v218
	v_lshlrev_b64_e32 v[22:23], 4, v[22:23]
	v_add_co_u32 v0, s0, v20, v0
	v_dual_mov_b32 v19, v27 :: v_dual_add_nc_u32 v210, 0xa8, v218
	v_mov_b32_e32 v25, v18
	s_wait_alu 0xf1ff
	v_add_co_ci_u32_e64 v1, s0, v21, v1, s0
	s_delay_alu instid0(VALU_DEP_3)
	v_mad_co_u64_u32 v[18:19], null, s19, v30, v[19:20]
	v_mad_co_u64_u32 v[30:31], null, s18, v34, 0
	v_add_nc_u32_e32 v209, 0x70, v218
	v_lshlrev_b64_e32 v[24:25], 4, v[24:25]
	v_add_co_u32 v22, s0, v20, v22
	v_mov_b32_e32 v27, v18
	s_delay_alu instid0(VALU_DEP_4)
	v_mad_co_u64_u32 v[28:29], null, s18, v209, 0
	s_wait_alu 0xf1ff
	v_add_co_ci_u32_e64 v23, s0, v21, v23, s0
	v_add_co_u32 v18, s0, v20, v24
	v_add_nc_u32_e32 v52, 0x746, v218
	v_or_b32_e32 v214, 0x1c0, v218
	v_mov_b32_e32 v19, v29
	s_mov_b32 s4, exec_lo
	v_add_nc_u32_e32 v211, 0xe0, v218
	v_mad_co_u64_u32 v[43:44], null, s18, v52, 0
	s_delay_alu instid0(VALU_DEP_3) | instskip(SKIP_4) | instid1(VALU_DEP_4)
	v_mad_co_u64_u32 v[32:33], null, s19, v209, v[19:20]
	s_wait_alu 0xf1ff
	v_add_co_ci_u32_e64 v19, s0, v21, v25, s0
	v_lshlrev_b64_e32 v[24:25], 4, v[26:27]
	v_dual_mov_b32 v26, v31 :: v_dual_add_nc_u32 v213, 0x188, v218
	v_mov_b32_e32 v29, v32
	v_mad_co_u64_u32 v[32:33], null, s18, v36, 0
	s_delay_alu instid0(VALU_DEP_3) | instskip(NEXT) | instid1(VALU_DEP_3)
	v_mad_co_u64_u32 v[26:27], null, s19, v34, v[26:27]
	v_lshlrev_b64_e32 v[27:28], 4, v[28:29]
	v_mad_co_u64_u32 v[34:35], null, s18, v39, 0
	v_add_co_u32 v24, s0, v20, v24
	v_mov_b32_e32 v29, v33
	v_mov_b32_e32 v31, v26
	s_wait_alu 0xf1ff
	v_add_co_ci_u32_e64 v25, s0, v21, v25, s0
	s_delay_alu instid0(VALU_DEP_3)
	v_mad_co_u64_u32 v[36:37], null, s19, v36, v[29:30]
	v_add_co_u32 v37, s0, v20, v27
	v_lshlrev_b64_e32 v[26:27], 4, v[30:31]
	v_mad_co_u64_u32 v[29:30], null, s18, v210, 0
	s_wait_alu 0xf1ff
	v_add_co_ci_u32_e64 v38, s0, v21, v28, s0
	v_dual_mov_b32 v28, v35 :: v_dual_mov_b32 v33, v36
	s_delay_alu instid0(VALU_DEP_1)
	v_mad_co_u64_u32 v[35:36], null, s19, v39, v[28:29]
	v_add_nc_u32_e32 v36, 0x292, v218
	v_add_co_u32 v39, s0, v20, v26
	s_wait_alu 0xf1ff
	v_add_co_ci_u32_e64 v40, s0, v21, v27, s0
	v_lshlrev_b64_e32 v[26:27], 4, v[32:33]
	v_mad_co_u64_u32 v[31:32], null, s18, v36, 0
	v_mov_b32_e32 v28, v30
	s_delay_alu instid0(VALU_DEP_3) | instskip(NEXT) | instid1(VALU_DEP_2)
	v_add_co_u32 v46, s0, v20, v26
	v_mad_co_u64_u32 v[41:42], null, s19, v210, v[28:29]
	s_delay_alu instid0(VALU_DEP_4)
	v_mov_b32_e32 v28, v32
	v_add_nc_u32_e32 v42, 0x47c, v218
	s_wait_alu 0xf1ff
	v_add_co_ci_u32_e64 v47, s0, v21, v27, s0
	v_lshlrev_b64_e32 v[26:27], 4, v[34:35]
	v_mad_co_u64_u32 v[35:36], null, s19, v36, v[28:29]
	v_add_nc_u32_e32 v36, 0x666, v218
	v_mov_b32_e32 v30, v41
	v_mad_co_u64_u32 v[33:34], null, s18, v42, 0
	v_add_co_u32 v48, s0, v20, v26
	s_wait_alu 0xf1ff
	v_add_co_ci_u32_e64 v49, s0, v21, v27, s0
	v_lshlrev_b64_e32 v[26:27], 4, v[29:30]
	v_mad_co_u64_u32 v[29:30], null, s18, v36, 0
	v_mov_b32_e32 v28, v34
	v_dual_mov_b32 v32, v35 :: v_dual_add_nc_u32 v41, 0x2ca, v218
	s_delay_alu instid0(VALU_DEP_4)
	v_add_co_u32 v54, s0, v20, v26
	s_wait_alu 0xf1ff
	v_add_co_ci_u32_e64 v55, s0, v21, v27, s0
	v_mad_co_u64_u32 v[34:35], null, s19, v42, v[28:29]
	v_lshlrev_b64_e32 v[26:27], 4, v[31:32]
	v_mov_b32_e32 v28, v30
	v_mad_co_u64_u32 v[31:32], null, s18, v211, 0
	v_add_nc_u32_e32 v42, 0x118, v218
	s_delay_alu instid0(VALU_DEP_3) | instskip(SKIP_1) | instid1(VALU_DEP_4)
	v_mad_co_u64_u32 v[35:36], null, s19, v36, v[28:29]
	v_add_co_u32 v56, s0, v20, v26
	v_mov_b32_e32 v28, v32
	s_wait_alu 0xf1ff
	v_add_co_ci_u32_e64 v57, s0, v21, v27, s0
	v_lshlrev_b64_e32 v[26:27], 4, v[33:34]
	v_mov_b32_e32 v30, v35
	v_mad_co_u64_u32 v[35:36], null, s19, v211, v[28:29]
	v_mad_co_u64_u32 v[33:34], null, s18, v41, 0
	v_add_nc_u32_e32 v36, 0x4b4, v218
	v_add_co_u32 v58, s0, v20, v26
	s_wait_alu 0xf1ff
	v_add_co_ci_u32_e64 v59, s0, v21, v27, s0
	v_lshlrev_b64_e32 v[26:27], 4, v[29:30]
	v_mad_co_u64_u32 v[29:30], null, s18, v36, 0
	v_mov_b32_e32 v28, v34
	v_mov_b32_e32 v32, v35
	scratch_store_b32 off, v42, off         ; 4-byte Folded Spill
	v_add_co_u32 v62, s0, v20, v26
	s_wait_alu 0xf1ff
	v_add_co_ci_u32_e64 v63, s0, v21, v27, s0
	v_mad_co_u64_u32 v[34:35], null, s19, v41, v[28:29]
	v_add_nc_u32_e32 v41, 0x69e, v218
	v_lshlrev_b64_e32 v[26:27], 4, v[31:32]
	v_mov_b32_e32 v28, v30
	s_delay_alu instid0(VALU_DEP_3) | instskip(NEXT) | instid1(VALU_DEP_2)
	v_mad_co_u64_u32 v[31:32], null, s18, v41, 0
	v_mad_co_u64_u32 v[35:36], null, s19, v36, v[28:29]
	s_delay_alu instid0(VALU_DEP_4) | instskip(SKIP_2) | instid1(VALU_DEP_4)
	v_add_co_u32 v64, s0, v20, v26
	s_wait_alu 0xf1ff
	v_add_co_ci_u32_e64 v65, s0, v21, v27, s0
	v_mov_b32_e32 v28, v32
	v_lshlrev_b64_e32 v[26:27], 4, v[33:34]
	v_mov_b32_e32 v30, v35
	v_mad_co_u64_u32 v[33:34], null, s18, v42, 0
	s_delay_alu instid0(VALU_DEP_4)
	v_mad_co_u64_u32 v[35:36], null, s19, v41, v[28:29]
	v_add_nc_u32_e32 v36, 0x302, v218
	v_add_co_u32 v66, s0, v20, v26
	s_wait_alu 0xf1ff
	v_add_co_ci_u32_e64 v67, s0, v21, v27, s0
	v_lshlrev_b64_e32 v[26:27], 4, v[29:30]
	v_mad_co_u64_u32 v[29:30], null, s18, v36, 0
	v_mov_b32_e32 v28, v34
	v_dual_mov_b32 v32, v35 :: v_dual_add_nc_u32 v41, 0x4ec, v218
	s_delay_alu instid0(VALU_DEP_4)
	v_add_co_u32 v68, s0, v20, v26
	s_wait_alu 0xf1ff
	v_add_co_ci_u32_e64 v69, s0, v21, v27, s0
	v_mad_co_u64_u32 v[34:35], null, s19, v42, v[28:29]
	v_lshlrev_b64_e32 v[26:27], 4, v[31:32]
	v_mov_b32_e32 v28, v30
	v_mad_co_u64_u32 v[31:32], null, s18, v41, 0
	v_add_nc_u32_e32 v42, 0x6d6, v218
	s_delay_alu instid0(VALU_DEP_3) | instskip(SKIP_1) | instid1(VALU_DEP_4)
	v_mad_co_u64_u32 v[35:36], null, s19, v36, v[28:29]
	v_add_co_u32 v86, s0, v20, v26
	v_mov_b32_e32 v28, v32
	s_wait_alu 0xf1ff
	v_add_co_ci_u32_e64 v87, s0, v21, v27, s0
	v_lshlrev_b64_e32 v[26:27], 4, v[33:34]
	v_mov_b32_e32 v30, v35
	v_mad_co_u64_u32 v[33:34], null, s18, v42, 0
	v_mad_co_u64_u32 v[35:36], null, s19, v41, v[28:29]
	s_delay_alu instid0(VALU_DEP_4)
	v_add_co_u32 v88, s0, v20, v26
	s_wait_alu 0xf1ff
	v_add_co_ci_u32_e64 v89, s0, v21, v27, s0
	v_lshlrev_b64_e32 v[26:27], 4, v[29:30]
	v_mad_co_u64_u32 v[29:30], null, s18, v212, 0
	v_mov_b32_e32 v28, v34
	v_dual_mov_b32 v32, v35 :: v_dual_add_nc_u32 v41, 0x33a, v218
	s_delay_alu instid0(VALU_DEP_4)
	v_add_co_u32 v90, s0, v20, v26
	s_wait_alu 0xf1ff
	v_add_co_ci_u32_e64 v91, s0, v21, v27, s0
	v_mad_co_u64_u32 v[34:35], null, s19, v42, v[28:29]
	v_lshlrev_b64_e32 v[26:27], 4, v[31:32]
	v_mov_b32_e32 v28, v30
	v_mad_co_u64_u32 v[31:32], null, s18, v41, 0
	v_add_nc_u32_e32 v42, 0x524, v218
	s_delay_alu instid0(VALU_DEP_3) | instskip(SKIP_1) | instid1(VALU_DEP_4)
	v_mad_co_u64_u32 v[35:36], null, s19, v212, v[28:29]
	v_add_co_u32 v92, s0, v20, v26
	v_mov_b32_e32 v28, v32
	s_wait_alu 0xf1ff
	v_add_co_ci_u32_e64 v93, s0, v21, v27, s0
	v_lshlrev_b64_e32 v[26:27], 4, v[33:34]
	v_mov_b32_e32 v30, v35
	v_mad_co_u64_u32 v[35:36], null, s19, v41, v[28:29]
	v_mad_co_u64_u32 v[33:34], null, s18, v42, 0
	v_add_nc_u32_e32 v36, 0x70e, v218
	v_add_co_u32 v94, s0, v20, v26
	s_wait_alu 0xf1ff
	v_add_co_ci_u32_e64 v95, s0, v21, v27, s0
	v_lshlrev_b64_e32 v[26:27], 4, v[29:30]
	v_mad_co_u64_u32 v[29:30], null, s18, v36, 0
	v_mov_b32_e32 v28, v34
	v_mov_b32_e32 v32, v35
	s_delay_alu instid0(VALU_DEP_4)
	v_add_co_u32 v96, s0, v20, v26
	s_wait_alu 0xf1ff
	v_add_co_ci_u32_e64 v97, s0, v21, v27, s0
	v_mad_co_u64_u32 v[34:35], null, s19, v42, v[28:29]
	v_lshlrev_b64_e32 v[26:27], 4, v[31:32]
	v_mov_b32_e32 v28, v30
	v_mad_co_u64_u32 v[31:32], null, s18, v213, 0
	s_delay_alu instid0(VALU_DEP_2) | instskip(NEXT) | instid1(VALU_DEP_4)
	v_mad_co_u64_u32 v[35:36], null, s19, v36, v[28:29]
	v_add_co_u32 v102, s0, v20, v26
	s_wait_alu 0xf1ff
	v_add_co_ci_u32_e64 v103, s0, v21, v27, s0
	v_lshlrev_b64_e32 v[27:28], 4, v[33:34]
	v_mov_b32_e32 v26, v32
	v_add_nc_u32_e32 v36, 0x372, v218
	v_mov_b32_e32 v30, v35
	s_delay_alu instid0(VALU_DEP_3) | instskip(SKIP_1) | instid1(VALU_DEP_4)
	v_mad_co_u64_u32 v[32:33], null, s19, v213, v[26:27]
	v_add_nc_u32_e32 v33, 0x55c, v218
	v_mad_co_u64_u32 v[34:35], null, s18, v36, 0
	v_add_co_u32 v104, s0, v20, v27
	s_delay_alu instid0(VALU_DEP_3) | instskip(SKIP_2) | instid1(VALU_DEP_4)
	v_mad_co_u64_u32 v[41:42], null, s18, v33, 0
	s_wait_alu 0xf1ff
	v_add_co_ci_u32_e64 v105, s0, v21, v28, s0
	v_mov_b32_e32 v28, v35
	v_lshlrev_b64_e32 v[26:27], 4, v[29:30]
	v_lshlrev_b64_e32 v[50:51], 4, v[31:32]
	s_delay_alu instid0(VALU_DEP_3) | instskip(SKIP_1) | instid1(VALU_DEP_4)
	v_mad_co_u64_u32 v[28:29], null, s19, v36, v[28:29]
	v_mov_b32_e32 v29, v42
	v_add_co_u32 v106, s0, v20, v26
	v_mov_b32_e32 v26, v44
	s_wait_alu 0xf1ff
	v_add_co_ci_u32_e64 v107, s0, v21, v27, s0
	v_mad_co_u64_u32 v[44:45], null, s19, v33, v[29:30]
	s_delay_alu instid0(VALU_DEP_3)
	v_mad_co_u64_u32 v[52:53], null, s19, v52, v[26:27]
	v_mov_b32_e32 v35, v28
	s_clause 0x1
	global_load_b128 v[30:33], v[0:1], off
	global_load_b128 v[26:29], v[22:23], off
	v_add_co_u32 v22, s0, v20, v50
	v_mov_b32_e32 v42, v44
	v_lshlrev_b64_e32 v[0:1], 4, v[34:35]
	v_mov_b32_e32 v44, v52
	s_wait_alu 0xf1ff
	v_add_co_ci_u32_e64 v23, s0, v21, v51, s0
	v_lshlrev_b64_e32 v[34:35], 4, v[41:42]
	s_delay_alu instid0(VALU_DEP_4) | instskip(SKIP_3) | instid1(VALU_DEP_4)
	v_add_co_u32 v0, s0, v20, v0
	v_lshlrev_b64_e32 v[41:42], 4, v[43:44]
	s_wait_alu 0xf1ff
	v_add_co_ci_u32_e64 v1, s0, v21, v1, s0
	v_add_co_u32 v108, s0, v20, v34
	s_wait_alu 0xf1ff
	v_add_co_ci_u32_e64 v109, s0, v21, v35, s0
	v_add_co_u32 v110, s0, v20, v41
	s_wait_alu 0xf1ff
	v_add_co_ci_u32_e64 v111, s0, v21, v42, s0
	s_clause 0x19
	global_load_b128 v[42:45], v[18:19], off
	global_load_b128 v[114:117], v[24:25], off
	;; [unrolled: 1-line block ×26, first 2 shown]
                                        ; implicit-def: $vgpr18_vgpr19
                                        ; implicit-def: $vgpr110_vgpr111
                                        ; implicit-def: $vgpr22_vgpr23
	v_cmpx_gt_u32_e32 0x1ea, v214
	s_cbranch_execz .LBB0_14
; %bb.13:
	v_add_nc_u32_e32 v113, 0x594, v218
	v_mad_co_u64_u32 v[0:1], null, s18, v214, 0
	v_add_nc_u32_e32 v142, 0x77e, v218
	s_delay_alu instid0(VALU_DEP_3) | instskip(SKIP_1) | instid1(VALU_DEP_3)
	v_mad_co_u64_u32 v[22:23], null, s18, v113, 0
	v_add_nc_u32_e32 v112, 0x3aa, v218
	v_mad_co_u64_u32 v[24:25], null, s18, v142, 0
	s_wait_loadcnt 0x1e
	v_mad_co_u64_u32 v[110:111], null, s19, v214, v[1:2]
	s_delay_alu instid0(VALU_DEP_4) | instskip(SKIP_1) | instid1(VALU_DEP_4)
	v_mov_b32_e32 v1, v23
	v_mad_co_u64_u32 v[18:19], null, s18, v112, 0
	v_mov_b32_e32 v23, v25
	s_delay_alu instid0(VALU_DEP_1) | instskip(NEXT) | instid1(VALU_DEP_3)
	v_mad_co_u64_u32 v[142:143], null, s19, v142, v[23:24]
	v_mad_co_u64_u32 v[111:112], null, s19, v112, v[19:20]
	;; [unrolled: 1-line block ×3, first 2 shown]
	v_mov_b32_e32 v1, v110
	s_delay_alu instid0(VALU_DEP_4) | instskip(NEXT) | instid1(VALU_DEP_4)
	v_mov_b32_e32 v25, v142
	v_mov_b32_e32 v19, v111
	s_delay_alu instid0(VALU_DEP_3) | instskip(SKIP_1) | instid1(VALU_DEP_3)
	v_lshlrev_b64_e32 v[0:1], 4, v[0:1]
	v_mov_b32_e32 v23, v112
	v_lshlrev_b64_e32 v[18:19], 4, v[18:19]
	s_delay_alu instid0(VALU_DEP_3) | instskip(NEXT) | instid1(VALU_DEP_3)
	v_add_co_u32 v0, s0, v20, v0
	v_lshlrev_b64_e32 v[22:23], 4, v[22:23]
	s_wait_alu 0xf1ff
	v_add_co_ci_u32_e64 v1, s0, v21, v1, s0
	s_delay_alu instid0(VALU_DEP_4)
	v_add_co_u32 v110, s0, v20, v18
	s_wait_alu 0xf1ff
	v_add_co_ci_u32_e64 v111, s0, v21, v19, s0
	v_lshlrev_b64_e32 v[18:19], 4, v[24:25]
	v_add_co_u32 v112, s0, v20, v22
	s_wait_alu 0xf1ff
	v_add_co_ci_u32_e64 v113, s0, v21, v23, s0
	s_delay_alu instid0(VALU_DEP_3)
	v_add_co_u32 v142, s0, v20, v18
	s_wait_alu 0xf1ff
	v_add_co_ci_u32_e64 v143, s0, v21, v19, s0
	s_clause 0x3
	global_load_b128 v[18:21], v[0:1], off
	global_load_b128 v[22:25], v[110:111], off
	;; [unrolled: 1-line block ×4, first 2 shown]
.LBB0_14:
	s_wait_alu 0xfffe
	s_or_b32 exec_lo, exec_lo, s4
.LBB0_15:
	s_delay_alu instid0(SALU_CYCLE_1)
	s_or_b32 exec_lo, exec_lo, s1
	s_wait_loadcnt 0x1d
	v_add_f64_e64 v[0:1], v[6:7], -v[10:11]
	s_wait_loadcnt 0x1c
	v_add_f64_e64 v[10:11], v[2:3], -v[14:15]
	;; [unrolled: 2-line block ×7, first 2 shown]
	v_add_f64_e64 v[126:127], v[4:5], -v[16:17]
	s_wait_loadcnt 0x4
	v_add_f64_e64 v[114:115], v[64:65], -v[136:137]
	s_wait_loadcnt 0x0
	v_add_f64_e64 v[70:71], v[24:25], -v[144:145]
	v_add_f64_e64 v[196:197], v[86:87], -v[98:99]
	;; [unrolled: 1-line block ×16, first 2 shown]
	v_cmp_gt_u32_e64 s0, 42, v218
	v_fma_f64 v[6:7], v[6:7], 2.0, -v[0:1]
	v_fma_f64 v[2:3], v[2:3], 2.0, -v[10:11]
	;; [unrolled: 1-line block ×7, first 2 shown]
	v_add_f64_e32 v[134:135], v[126:127], v[0:1]
	v_fma_f64 v[86:87], v[86:87], 2.0, -v[196:197]
	v_fma_f64 v[54:55], v[54:55], 2.0, -v[98:99]
	v_fma_f64 v[90:91], v[90:91], 2.0, -v[200:201]
	v_fma_f64 v[62:63], v[62:63], 2.0, -v[102:103]
	v_add_f64_e32 v[138:139], v[130:131], v[174:175]
	v_add_f64_e32 v[160:161], v[116:117], v[196:197]
	v_fma_f64 v[74:75], v[74:75], 2.0, -v[184:185]
	v_fma_f64 v[34:35], v[34:35], 2.0, -v[42:43]
	;; [unrolled: 1-line block ×5, first 2 shown]
	v_add_f64_e32 v[148:149], v[122:123], v[184:185]
	v_add_f64_e32 v[152:153], v[120:121], v[188:189]
	;; [unrolled: 1-line block ×5, first 2 shown]
	v_add_f64_e64 v[132:133], v[6:7], -v[2:3]
	v_add_f64_e64 v[136:137], v[30:31], -v[26:27]
	;; [unrolled: 1-line block ×4, first 2 shown]
	v_fma_f64 v[172:173], v[0:1], 2.0, -v[134:135]
	v_add_f64_e64 v[158:159], v[86:87], -v[54:55]
	v_add_f64_e64 v[162:163], v[90:91], -v[62:63]
	v_fma_f64 v[182:183], v[174:175], 2.0, -v[138:139]
	v_fma_f64 v[198:199], v[196:197], 2.0, -v[160:161]
	v_add_f64_e64 v[146:147], v[74:75], -v[34:35]
	v_add_f64_e64 v[150:151], v[78:79], -v[38:39]
	;; [unrolled: 1-line block ×3, first 2 shown]
	v_fma_f64 v[186:187], v[184:185], 2.0, -v[148:149]
	v_fma_f64 v[190:191], v[188:189], 2.0, -v[152:153]
	;; [unrolled: 1-line block ×6, first 2 shown]
	v_add_f64_e64 v[6:7], v[22:23], -v[142:143]
	v_fma_f64 v[180:181], v[30:31], 2.0, -v[136:137]
	v_add_f64_e32 v[2:3], v[70:71], v[26:27]
	v_fma_f64 v[192:193], v[82:83], 2.0, -v[154:155]
	v_lshl_add_u32 v83, v209, 5, 0
	v_lshl_add_u32 v82, v210, 5, 0
	v_fma_f64 v[196:197], v[86:87], 2.0, -v[158:159]
	v_lshl_add_u32 v87, v208, 5, 0
	v_fma_f64 v[200:201], v[90:91], 2.0, -v[162:163]
	;; [unrolled: 2-line block ×3, first 2 shown]
	v_fma_f64 v[188:189], v[78:79], 2.0, -v[150:151]
	v_lshl_add_u32 v79, v211, 5, 0
	v_fma_f64 v[204:205], v[94:95], 2.0, -v[166:167]
	v_lshl_add_u32 v78, v212, 5, 0
	v_lshl_add_u32 v75, v213, 5, 0
	;; [unrolled: 1-line block ×3, first 2 shown]
	scratch_store_b128 off, v[0:3], off offset:100 ; 16-byte Folded Spill
	scratch_load_b32 v0, off, off           ; 4-byte Folded Reload
	s_wait_loadcnt 0x0
	v_lshl_add_u32 v86, v0, 5, 0
	ds_store_b128 v90, v[170:173]
	ds_store_b128 v90, v[132:135] offset:16
	ds_store_b128 v87, v[180:183]
	ds_store_b128 v87, v[136:139] offset:16
	;; [unrolled: 2-line block ×8, first 2 shown]
	s_and_saveexec_b32 s1, s0
	s_cbranch_execz .LBB0_17
; %bb.16:
	v_fma_f64 v[18:19], v[18:19], 2.0, -v[26:27]
	v_fma_f64 v[0:1], v[22:23], 2.0, -v[6:7]
	v_add_f64_e32 v[138:139], v[70:71], v[26:27]
	s_delay_alu instid0(VALU_DEP_2) | instskip(NEXT) | instid1(VALU_DEP_2)
	v_add_f64_e64 v[136:137], v[18:19], -v[0:1]
	v_fma_f64 v[134:135], v[26:27], 2.0, -v[138:139]
	v_dual_mov_b32 v2, v138 :: v_dual_mov_b32 v3, v139
	scratch_store_b128 off, v[0:3], off offset:100 ; 16-byte Folded Spill
	v_fma_f64 v[132:133], v[18:19], 2.0, -v[136:137]
	ds_store_b128 v74, v[136:139] offset:16
	ds_store_b128 v74, v[132:135]
.LBB0_17:
	s_wait_alu 0xfffe
	s_or_b32 exec_lo, exec_lo, s1
	v_add_f64_e64 v[12:13], v[8:9], -v[12:13]
	v_add_f64_e64 v[18:19], v[32:33], -v[44:45]
	;; [unrolled: 1-line block ×3, first 2 shown]
	v_fma_f64 v[0:1], v[4:5], 2.0, -v[126:127]
	s_clause 0x2
	scratch_store_b32 off, v214, off offset:144
	scratch_store_b32 off, v213, off offset:140
	scratch_store_b32 off, v212, off offset:120
	global_wb scope:SCOPE_SE
	s_wait_storecnt_dscnt 0x0
	s_wait_kmcnt 0x0
	s_barrier_signal -1
	s_barrier_wait -1
	global_inv scope:SCOPE_SE
	v_add_f64_e64 v[26:27], v[76:77], -v[52:53]
	v_fma_f64 v[4:5], v[28:29], 2.0, -v[130:131]
	v_fma_f64 v[22:23], v[36:37], 2.0, -v[122:123]
	v_add_f64_e64 v[30:31], v[80:81], -v[60:61]
	v_add_f64_e64 v[34:35], v[84:85], -v[72:73]
	v_add_f64_e64 v[38:39], v[88:89], -v[100:101]
	v_add_f64_e64 v[46:47], v[96:97], -v[108:109]
	v_fma_f64 v[52:53], v[56:57], 2.0, -v[116:117]
	v_lshl_add_u32 v229, v218, 3, 0
	s_clause 0x1
	scratch_store_b32 off, v209, off offset:48
	scratch_store_b32 off, v210, off offset:64
	v_fma_f64 v[56:57], v[64:65], 2.0, -v[114:115]
	v_fma_f64 v[16:17], v[68:69], 2.0, -v[16:17]
	v_lshl_add_u32 v235, v211, 3, 0
	v_lshl_add_u32 v2, v208, 3, 0
	;; [unrolled: 1-line block ×3, first 2 shown]
	v_add_nc_u32_e32 v193, 0x1000, v229
	v_add_nc_u32_e32 v192, 0x1800, v229
	;; [unrolled: 1-line block ×7, first 2 shown]
	v_fma_f64 v[8:9], v[8:9], 2.0, -v[12:13]
	v_fma_f64 v[28:29], v[32:33], 2.0, -v[18:19]
	;; [unrolled: 1-line block ×5, first 2 shown]
	v_add_f64_e64 v[93:94], v[12:13], -v[10:11]
	v_add_f64_e64 v[118:119], v[18:19], -v[14:15]
	;; [unrolled: 1-line block ×3, first 2 shown]
	v_add_nc_u32_e32 v103, 0x2000, v229
	v_fma_f64 v[36:37], v[76:77], 2.0, -v[26:27]
	v_add_f64_e64 v[126:127], v[26:27], -v[42:43]
	v_add_nc_u32_e32 v102, 0x800, v229
	v_fma_f64 v[48:49], v[80:81], 2.0, -v[30:31]
	v_fma_f64 v[54:55], v[84:85], 2.0, -v[34:35]
	;; [unrolled: 1-line block ×4, first 2 shown]
	v_add_f64_e64 v[130:131], v[30:31], -v[50:51]
	v_add_f64_e64 v[100:101], v[34:35], -v[58:59]
	;; [unrolled: 1-line block ×5, first 2 shown]
	scratch_load_b32 v1, off, off           ; 4-byte Folded Reload
	v_add_f64_e64 v[116:117], v[28:29], -v[4:5]
	v_lshl_add_u32 v4, v210, 3, 0
	s_clause 0x1
	scratch_store_b32 off, v211, off offset:72
	scratch_store_b32 off, v208, off offset:116
	v_add_f64_e64 v[136:137], v[62:63], -v[56:57]
	v_fma_f64 v[146:147], v[12:13], 2.0, -v[93:94]
	scratch_store_b32 off, v4, off offset:88 ; 4-byte Folded Spill
	v_add_f64_e64 v[124:125], v[36:37], -v[22:23]
	v_add_f64_e64 v[22:23], v[20:21], -v[112:113]
	ds_load_b64 v[112:113], v229
	ds_load_b64 v[4:5], v4
	v_add_f64_e64 v[128:129], v[48:49], -v[32:33]
	v_add_f64_e64 v[98:99], v[54:55], -v[40:41]
	;; [unrolled: 1-line block ×4, first 2 shown]
	v_fma_f64 v[150:151], v[18:19], 2.0, -v[118:119]
	v_fma_f64 v[154:155], v[26:27], 2.0, -v[126:127]
	v_fma_f64 v[158:159], v[30:31], 2.0, -v[130:131]
	v_fma_f64 v[162:163], v[34:35], 2.0, -v[100:101]
	v_fma_f64 v[166:167], v[38:39], 2.0, -v[134:135]
	v_fma_f64 v[170:171], v[44:45], 2.0, -v[138:139]
	v_fma_f64 v[174:175], v[46:47], 2.0, -v[142:143]
	s_wait_dscnt 0x0
	scratch_store_b64 off, v[4:5], off offset:92 ; 8-byte Folded Spill
	v_fma_f64 v[144:145], v[8:9], 2.0, -v[91:92]
	v_fma_f64 v[148:149], v[28:29], 2.0, -v[116:117]
	;; [unrolled: 1-line block ×8, first 2 shown]
	s_wait_loadcnt 0x0
	v_mad_i32_i24 v0, 0xffffffe8, v1, v86
	v_mul_i32_i24_e32 v88, 0xffffffe8, v1
	ds_load_b64 v[122:123], v0
	ds_load_b64 v[4:5], v235
	s_wait_dscnt 0x0
	scratch_store_b64 off, v[4:5], off offset:124 ; 8-byte Folded Spill
	v_add_f64_e64 v[4:5], v[22:23], -v[6:7]
	s_clause 0x1
	scratch_store_b128 off, v[2:5], off offset:32
	scratch_store_b32 off, v3, off offset:84
	ds_load_b64 v[108:109], v3
	ds_load_b64 v[110:111], v2
	ds_load_b64 v[120:121], v229 offset:15232
	ds_load_2addr_b64 v[62:65], v193 offset0:48 offset1:104
	ds_load_2addr_b64 v[58:61], v192 offset0:16 offset1:72
	ds_load_2addr_b64 v[34:37], v103 offset0:96 offset1:152
	ds_load_2addr_b64 v[8:11], v195 offset0:64 offset1:120
	ds_load_2addr_b64 v[46:49], v194 offset0:144 offset1:200
	ds_load_2addr_b64 v[54:57], v102 offset0:80 offset1:136
	ds_load_2addr_b64 v[26:29], v192 offset0:128 offset1:184
	ds_load_2addr_b64 v[42:45], v195 offset0:176 offset1:232
	ds_load_2addr_b64 v[66:69], v193 offset0:160 offset1:216
	ds_load_2addr_b64 v[16:19], v115 offset0:80 offset1:136
	ds_load_2addr_b64 v[38:41], v114 offset1:56
	ds_load_2addr_b64 v[50:53], v102 offset0:192 offset1:248
	ds_load_2addr_b64 v[12:15], v230 offset0:112 offset1:168
	;; [unrolled: 1-line block ×3, first 2 shown]
	global_wb scope:SCOPE_SE
	s_wait_storecnt_dscnt 0x0
	s_barrier_signal -1
	s_barrier_wait -1
	global_inv scope:SCOPE_SE
	ds_store_b128 v90, v[144:147]
	ds_store_b128 v90, v[91:94] offset:16
	ds_store_b128 v87, v[148:151]
	ds_store_b128 v87, v[116:119] offset:16
	;; [unrolled: 2-line block ×8, first 2 shown]
	s_and_saveexec_b32 s1, s0
	s_cbranch_execz .LBB0_19
; %bb.18:
	v_fma_f64 v[4:5], v[24:25], 2.0, -v[70:71]
	scratch_load_b128 v[70:73], off, off offset:32 th:TH_LOAD_LU ; 16-byte Folded Reload
	v_fma_f64 v[20:21], v[20:21], 2.0, -v[22:23]
	s_wait_loadcnt 0x0
	s_delay_alu instid0(VALU_DEP_1) | instskip(NEXT) | instid1(VALU_DEP_1)
	v_add_f64_e64 v[70:71], v[20:21], -v[4:5]
	v_fma_f64 v[20:21], v[20:21], 2.0, -v[70:71]
	v_fma_f64 v[22:23], v[22:23], 2.0, -v[72:73]
	v_dual_mov_b32 v3, v72 :: v_dual_mov_b32 v4, v73
	ds_store_b128 v74, v[70:73] offset:16
	scratch_store_b128 off, v[1:4], off offset:32 ; 16-byte Folded Spill
	ds_store_b128 v74, v[20:23]
.LBB0_19:
	s_wait_alu 0xfffe
	s_or_b32 exec_lo, exec_lo, s1
	v_and_b32_e32 v24, 3, v218
	global_wb scope:SCOPE_SE
	s_wait_storecnt_dscnt 0x0
	s_barrier_signal -1
	s_barrier_wait -1
	global_inv scope:SCOPE_SE
	v_mul_u32_u24_e32 v0, 6, v24
	s_mov_b32 s18, 0x37e14327
	s_mov_b32 s20, 0xe976ee23
	s_mov_b32 s4, 0x429ad128
	s_mov_b32 s12, 0x36b3c0b5
	v_lshlrev_b32_e32 v0, 4, v0
	s_mov_b32 s19, 0x3fe948f6
	s_mov_b32 s21, 0x3fe11646
	;; [unrolled: 1-line block ×4, first 2 shown]
	s_clause 0x5
	global_load_b128 v[94:97], v0, s[8:9] offset:16
	global_load_b128 v[20:23], v0, s[8:9]
	global_load_b128 v[70:73], v0, s[8:9] offset:80
	global_load_b128 v[82:85], v0, s[8:9] offset:64
	;; [unrolled: 1-line block ×4, first 2 shown]
	ds_load_2addr_b64 v[98:101], v193 offset0:48 offset1:104
	v_add_nc_u32_e32 v0, v86, v88
	s_mov_b32 s10, 0x5476071b
	s_mov_b32 s22, 0xb247c609
	;; [unrolled: 1-line block ×4, first 2 shown]
	scratch_store_b32 off, v0, off offset:16 ; 4-byte Folded Spill
	ds_load_2addr_b64 v[90:93], v194 offset0:144 offset1:200
	ds_load_2addr_b64 v[86:89], v195 offset0:64 offset1:120
	ds_load_b64 v[4:5], v0
	ds_load_2addr_b64 v[124:127], v193 offset0:160 offset1:216
	ds_load_2addr_b64 v[128:131], v192 offset0:16 offset1:72
	ds_load_2addr_b64 v[140:143], v103 offset0:96 offset1:152
	ds_load_2addr_b64 v[132:135], v102 offset0:80 offset1:136
	ds_load_2addr_b64 v[102:105], v102 offset0:192 offset1:248
	ds_load_2addr_b64 v[144:147], v192 offset0:128 offset1:184
	ds_load_2addr_b64 v[154:157], v195 offset0:176 offset1:232
	ds_load_2addr_b64 v[168:171], v115 offset0:80 offset1:136
	ds_load_2addr_b64 v[182:185], v114 offset1:56
	ds_load_2addr_b64 v[186:189], v230 offset0:112 offset1:168
	ds_load_2addr_b64 v[212:215], v194 offset0:32 offset1:88
	ds_load_b64 v[116:117], v2
	ds_load_b64 v[190:191], v229 offset:15232
	ds_load_b64 v[118:119], v229
	scratch_store_b32 off, v2, off offset:80 ; 4-byte Folded Spill
	s_mov_b32 s23, 0xbfd5d0dc
	s_mov_b32 s25, 0x3fd5d0dc
	;; [unrolled: 1-line block ×3, first 2 shown]
	s_wait_alu 0xfffe
	s_mov_b32 s14, s10
	s_mov_b32 s28, 0xaaaaaaaa
	;; [unrolled: 1-line block ×5, first 2 shown]
	ds_load_b64 v[114:115], v235
	v_cmp_gt_u32_e64 s0, 28, v218
	s_wait_loadcnt_dscnt 0x512
	v_mul_f64_e32 v[136:137], v[98:99], v[96:97]
	v_mul_f64_e32 v[148:149], v[62:63], v[96:97]
	;; [unrolled: 1-line block ×3, first 2 shown]
	s_wait_dscnt 0xe
	v_mul_f64_e32 v[160:161], v[126:127], v[96:97]
	s_wait_loadcnt 0x1
	v_mul_f64_e32 v[202:203], v[60:61], v[80:81]
	v_mul_f64_e32 v[204:205], v[58:59], v[96:97]
	;; [unrolled: 1-line block ×10, first 2 shown]
	s_wait_dscnt 0xd
	v_mul_f64_e32 v[200:201], v[130:131], v[80:81]
	s_wait_loadcnt_dscnt 0xc
	v_mul_f64_e32 v[216:217], v[140:141], v[76:77]
	v_mul_f64_e32 v[208:209], v[10:11], v[84:85]
	;; [unrolled: 1-line block ×5, first 2 shown]
	s_wait_dscnt 0xb
	v_mul_f64_e32 v[236:237], v[132:133], v[22:23]
	v_mul_f64_e32 v[238:239], v[134:135], v[22:23]
	;; [unrolled: 1-line block ×4, first 2 shown]
	s_wait_dscnt 0xa
	v_mul_f64_e32 v[244:245], v[102:103], v[22:23]
	v_mul_f64_e32 v[246:247], v[50:51], v[22:23]
	;; [unrolled: 1-line block ×5, first 2 shown]
	s_wait_dscnt 0x9
	v_mul_f64_e32 v[227:228], v[144:145], v[80:81]
	s_wait_dscnt 0x4
	v_mul_f64_e32 v[0:1], v[214:215], v[84:85]
	;; [unrolled: 2-line block ×3, first 2 shown]
	v_mul_f64_e32 v[22:23], v[52:53], v[22:23]
	v_mul_f64_e32 v[252:253], v[36:37], v[76:77]
	;; [unrolled: 1-line block ×6, first 2 shown]
	v_fma_f64 v[96:97], v[62:63], v[94:95], v[136:137]
	v_mul_f64_e32 v[136:137], v[154:155], v[84:85]
	v_fma_f64 v[198:199], v[98:99], v[94:95], -v[148:149]
	v_fma_f64 v[166:167], v[100:101], v[94:95], -v[150:151]
	v_mul_f64_e32 v[148:149], v[156:157], v[84:85]
	v_fma_f64 v[62:63], v[68:69], v[94:95], v[160:161]
	v_mul_f64_e32 v[150:151], v[182:183], v[72:73]
	v_fma_f64 v[68:69], v[130:131], v[78:79], -v[202:203]
	v_fma_f64 v[100:101], v[128:129], v[94:95], -v[204:205]
	v_mul_f64_e32 v[202:203], v[184:185], v[72:73]
	v_mul_f64_e32 v[204:205], v[212:213], v[84:85]
	v_fma_f64 v[64:65], v[64:65], v[94:95], v[138:139]
	v_mul_f64_e32 v[2:3], v[42:43], v[84:85]
	v_fma_f64 v[66:67], v[66:67], v[94:95], v[158:159]
	v_mul_f64_e32 v[158:159], v[44:45], v[84:85]
	v_mul_f64_e32 v[6:7], v[168:169], v[76:77]
	v_fma_f64 v[160:161], v[124:125], v[94:95], -v[164:165]
	v_fma_f64 v[138:139], v[126:127], v[94:95], -v[174:175]
	v_mul_f64_e32 v[233:234], v[170:171], v[76:77]
	v_fma_f64 v[58:59], v[58:59], v[94:95], v[206:207]
	v_fma_f64 v[124:125], v[60:61], v[78:79], v[200:201]
	v_mul_f64_e32 v[200:201], v[16:17], v[76:77]
	v_mul_f64_e32 v[180:181], v[18:19], v[76:77]
	v_fma_f64 v[98:99], v[54:55], v[20:21], v[236:237]
	v_fma_f64 v[60:61], v[56:57], v[20:21], v[238:239]
	v_mul_f64_e32 v[54:55], v[38:39], v[72:73]
	v_mul_f64_e32 v[236:237], v[12:13], v[80:81]
	v_fma_f64 v[174:175], v[132:133], v[20:21], -v[240:241]
	v_fma_f64 v[164:165], v[134:135], v[20:21], -v[242:243]
	v_mul_f64_e32 v[238:239], v[30:31], v[84:85]
	v_mul_f64_e32 v[240:241], v[14:15], v[80:81]
	v_fma_f64 v[94:95], v[50:51], v[20:21], v[244:245]
	v_fma_f64 v[56:57], v[52:53], v[20:21], v[248:249]
	v_mul_f64_e32 v[50:51], v[8:9], v[76:77]
	v_mul_f64_e32 v[52:53], v[32:33], v[84:85]
	v_fma_f64 v[122:123], v[122:123], v[20:21], v[152:153]
	v_mul_f64_e32 v[242:243], v[40:41], v[72:73]
	v_fma_f64 v[126:127], v[46:47], v[70:71], v[162:163]
	v_fma_f64 v[128:129], v[10:11], v[82:83], v[172:173]
	v_fma_f64 v[84:85], v[48:49], v[70:71], v[254:255]
	v_mul_f64_e32 v[10:11], v[186:187], v[80:81]
	v_mul_f64_e32 v[46:47], v[188:189], v[80:81]
	v_fma_f64 v[206:207], v[4:5], v[20:21], -v[196:197]
	v_fma_f64 v[80:81], v[42:43], v[82:83], v[136:137]
	v_mul_f64_e32 v[4:5], v[86:87], v[76:77]
	v_fma_f64 v[208:209], v[88:89], v[82:83], -v[208:209]
	v_fma_f64 v[130:131], v[140:141], v[74:75], -v[210:211]
	v_fma_f64 v[210:211], v[90:91], v[70:71], -v[231:232]
	v_fma_f64 v[88:89], v[44:45], v[82:83], v[148:149]
	v_fma_f64 v[76:77], v[38:39], v[70:71], v[150:151]
	v_mul_f64_e32 v[38:39], v[120:121], v[72:73]
	v_fma_f64 v[132:133], v[34:35], v[74:75], v[216:217]
	v_fma_f64 v[162:163], v[102:103], v[20:21], -v[246:247]
	v_fma_f64 v[102:103], v[36:37], v[74:75], v[250:251]
	v_fma_f64 v[72:73], v[40:41], v[70:71], v[202:203]
	v_fma_f64 v[90:91], v[30:31], v[82:83], v[204:205]
	v_fma_f64 v[134:135], v[26:27], v[78:79], v[227:228]
	v_fma_f64 v[120:121], v[120:121], v[70:71], v[106:107]
	v_fma_f64 v[136:137], v[32:33], v[82:83], v[0:1]
	v_fma_f64 v[150:151], v[142:143], v[74:75], -v[252:253]
	v_fma_f64 v[202:203], v[92:93], v[70:71], -v[225:226]
	v_fma_f64 v[92:93], v[28:29], v[78:79], v[223:224]
	v_fma_f64 v[152:153], v[144:145], v[78:79], -v[219:220]
	v_fma_f64 v[144:145], v[146:147], v[78:79], -v[221:222]
	v_fma_f64 v[204:205], v[154:155], v[82:83], -v[2:3]
	v_fma_f64 v[196:197], v[156:157], v[82:83], -v[158:159]
	v_fma_f64 v[146:147], v[16:17], v[74:75], v[6:7]
	v_fma_f64 v[154:155], v[168:169], v[74:75], -v[200:201]
	v_fma_f64 v[142:143], v[170:171], v[74:75], -v[180:181]
	;; [unrolled: 1-line block ×7, first 2 shown]
	v_fma_f64 v[86:87], v[18:19], v[74:75], v[233:234]
	v_add_f64_e32 v[0:1], v[122:123], v[126:127]
	v_add_f64_e32 v[2:3], v[96:97], v[128:129]
	;; [unrolled: 1-line block ×3, first 2 shown]
	v_fma_f64 v[156:157], v[12:13], v[78:79], v[10:11]
	v_fma_f64 v[78:79], v[14:15], v[78:79], v[46:47]
	v_fma_f64 v[200:201], v[182:183], v[70:71], -v[54:55]
	v_add_f64_e32 v[10:11], v[64:65], v[80:81]
	v_fma_f64 v[74:75], v[8:9], v[74:75], v[4:5]
	v_add_f64_e64 v[4:5], v[198:199], -v[208:209]
	v_add_f64_e64 v[8:9], v[130:131], -v[68:69]
	;; [unrolled: 1-line block ×3, first 2 shown]
	v_add_f64_e32 v[16:17], v[66:67], v[88:89]
	v_add_f64_e32 v[14:15], v[60:61], v[76:77]
	v_fma_f64 v[170:171], v[184:185], v[70:71], -v[242:243]
	v_add_f64_e32 v[18:19], v[124:125], v[132:133]
	v_fma_f64 v[172:173], v[104:105], v[20:21], -v[22:23]
	v_fma_f64 v[70:71], v[190:191], v[70:71], -v[38:39]
	v_add_f64_e32 v[25:26], v[94:95], v[72:73]
	v_add_f64_e32 v[27:28], v[62:63], v[90:91]
	;; [unrolled: 1-line block ×5, first 2 shown]
	v_lshrrev_b32_e32 v55, 2, v218
	v_add_f64_e64 v[39:40], v[174:175], -v[202:203]
	v_add_f64_e64 v[22:23], v[150:151], -v[152:153]
	;; [unrolled: 1-line block ×4, first 2 shown]
	v_add_f64_e32 v[41:42], v[92:93], v[146:147]
	v_add_f64_e64 v[37:38], v[154:155], -v[144:145]
	v_mul_u32_u24_e32 v55, 28, v55
	v_add_f64_e64 v[45:46], v[142:143], -v[148:149]
	v_add_f64_e64 v[43:44], v[138:139], -v[168:169]
	;; [unrolled: 1-line block ×4, first 2 shown]
	v_add_f64_e32 v[51:52], v[2:3], v[0:1]
	v_add_f64_e32 v[104:105], v[156:157], v[86:87]
	v_add_f64_e64 v[53:54], v[164:165], -v[200:201]
	v_add_f64_e32 v[106:107], v[10:11], v[6:7]
	v_add_f64_e32 v[182:183], v[78:79], v[74:75]
	v_add_f64_e64 v[184:185], v[8:9], -v[4:5]
	v_add_f64_e64 v[186:187], v[4:5], -v[12:13]
	v_add_f64_e32 v[4:5], v[8:9], v[4:5]
	v_add_f64_e32 v[188:189], v[16:17], v[14:15]
	v_add_f64_e64 v[8:9], v[12:13], -v[8:9]
	v_add_f64_e64 v[190:191], v[0:1], -v[18:19]
	;; [unrolled: 1-line block ×5, first 2 shown]
	v_add_f64_e32 v[214:215], v[27:28], v[25:26]
	v_add_f64_e64 v[216:217], v[6:7], -v[29:30]
	v_add_f64_e64 v[221:222], v[29:30], -v[10:11]
	v_add_f64_e32 v[219:220], v[33:34], v[31:32]
	v_add_f64_e64 v[6:7], v[10:11], -v[6:7]
	v_add_f64_e64 v[236:237], v[27:28], -v[25:26]
	v_add_f64_e64 v[238:239], v[33:34], -v[31:32]
	v_add_f64_e64 v[180:181], v[162:163], -v[170:171]
	v_add_f64_e64 v[223:224], v[172:173], -v[70:71]
	v_add_f64_e32 v[2:3], v[22:23], v[20:21]
	v_add_f64_e64 v[10:11], v[22:23], -v[20:21]
	v_add_f64_e64 v[14:15], v[14:15], -v[41:42]
	v_add_f64_e64 v[16:17], v[41:42], -v[16:17]
	v_add_f64_e32 v[225:226], v[37:38], v[35:36]
	v_add_f64_e64 v[20:21], v[20:21], -v[39:40]
	v_add_f64_e32 v[231:232], v[45:46], v[43:44]
	v_add_f64_e64 v[22:23], v[39:40], -v[22:23]
	v_add_f64_e32 v[233:234], v[49:50], v[47:48]
	v_add_f64_e32 v[18:19], v[18:19], v[51:52]
	v_add_f64_e64 v[51:52], v[37:38], -v[35:36]
	v_add_f64_e64 v[25:26], v[25:26], -v[104:105]
	;; [unrolled: 1-line block ×4, first 2 shown]
	v_add_f64_e32 v[29:30], v[29:30], v[106:107]
	v_add_f64_e64 v[31:32], v[31:32], -v[182:183]
	v_add_f64_e64 v[33:34], v[182:183], -v[33:34]
	v_mul_f64_e32 v[184:185], s[20:21], v[184:185]
	v_add_f64_e64 v[106:107], v[45:46], -v[43:44]
	v_add_f64_e32 v[4:5], v[4:5], v[12:13]
	v_add_f64_e32 v[41:42], v[41:42], v[188:189]
	v_mul_f64_e32 v[188:189], s[4:5], v[186:187]
	v_mul_f64_e32 v[190:191], s[18:19], v[190:191]
	v_add_f64_e64 v[12:13], v[49:50], -v[47:48]
	v_add_f64_e64 v[37:38], v[53:54], -v[37:38]
	v_add_f64_e32 v[104:105], v[104:105], v[214:215]
	v_mul_f64_e32 v[214:215], s[12:13], v[212:213]
	v_mul_f64_e32 v[216:217], s[18:19], v[216:217]
	v_add_f64_e32 v[182:183], v[182:183], v[219:220]
	v_mul_f64_e32 v[219:220], s[12:13], v[221:222]
	v_add_f64_e64 v[43:44], v[43:44], -v[180:181]
	v_add_f64_e64 v[47:48], v[47:48], -v[223:224]
	;; [unrolled: 1-line block ×4, first 2 shown]
	v_add_f64_e32 v[2:3], v[2:3], v[39:40]
	v_mul_f64_e32 v[10:11], s[20:21], v[10:11]
	v_add_f64_e32 v[39:40], v[225:226], v[53:54]
	v_mul_f64_e32 v[14:15], s[18:19], v[14:15]
	;; [unrolled: 2-line block ×3, first 2 shown]
	v_add_f64_e32 v[180:181], v[233:234], v[223:224]
	v_add_f64_e32 v[223:224], v[112:113], v[18:19]
	v_mul_f64_e32 v[112:113], s[4:5], v[20:21]
	v_mul_f64_e32 v[51:52], s[20:21], v[51:52]
	;; [unrolled: 1-line block ×4, first 2 shown]
	v_add_f64_e32 v[233:234], v[110:111], v[29:30]
	v_mul_f64_e32 v[110:111], s[12:13], v[27:28]
	v_mul_f64_e32 v[31:32], s[18:19], v[31:32]
	v_fma_f64 v[186:187], v[186:187], s[4:5], -v[184:185]
	v_fma_f64 v[184:185], v[8:9], s[22:23], v[184:185]
	v_mul_f64_e32 v[106:107], s[20:21], v[106:107]
	v_add_f64_e32 v[240:241], v[108:109], v[41:42]
	v_fma_f64 v[8:9], v[8:9], s[24:25], -v[188:189]
	v_fma_f64 v[188:189], v[212:213], s[12:13], v[190:191]
	v_fma_f64 v[190:191], v[0:1], s[14:15], -v[190:191]
	scratch_load_b64 v[212:213], off, off offset:92 th:TH_LOAD_LU ; 8-byte Folded Reload
	v_mul_f64_e32 v[12:13], s[20:21], v[12:13]
	v_fma_f64 v[0:1], v[0:1], s[10:11], -v[214:215]
	v_fma_f64 v[214:215], v[221:222], s[12:13], v[216:217]
	v_fma_f64 v[219:220], v[6:7], s[10:11], -v[219:220]
	v_fma_f64 v[6:7], v[6:7], s[14:15], -v[216:217]
	scratch_load_b64 v[216:217], off, off offset:124 th:TH_LOAD_LU ; 8-byte Folded Reload
	v_mul_f64_e32 v[108:109], s[4:5], v[43:44]
	v_mul_f64_e32 v[221:222], s[4:5], v[47:48]
	v_fma_f64 v[20:21], v[20:21], s[4:5], -v[10:11]
	v_fma_f64 v[10:11], v[22:23], s[22:23], v[10:11]
	v_fma_f64 v[16:17], v[16:17], s[12:13], v[14:15]
	v_fma_f64 v[14:15], v[227:228], s[14:15], -v[14:15]
	s_wait_alu 0xfffe
	v_fma_f64 v[18:19], v[18:19], s[28:29], v[223:224]
	v_fma_f64 v[22:23], v[22:23], s[24:25], -v[112:113]
	v_fma_f64 v[112:113], v[227:228], s[10:11], -v[225:226]
	v_fma_f64 v[225:226], v[37:38], s[22:23], v[51:52]
	v_fma_f64 v[35:36], v[35:36], s[4:5], -v[51:52]
	v_fma_f64 v[37:38], v[37:38], s[24:25], -v[231:232]
	v_fma_f64 v[27:28], v[27:28], s[12:13], v[25:26]
	v_fma_f64 v[110:111], v[236:237], s[10:11], -v[110:111]
	v_fma_f64 v[25:26], v[236:237], s[14:15], -v[25:26]
	scratch_load_b32 v237, off, off offset:144 ; 4-byte Folded Reload
	v_fma_f64 v[51:52], v[45:46], s[22:23], v[106:107]
	s_clause 0x1
	scratch_load_b32 v228, off, off offset:120
	scratch_load_b32 v232, off, off offset:140
	v_fma_f64 v[41:42], v[41:42], s[28:29], v[240:241]
	v_fma_f64 v[43:44], v[43:44], s[4:5], -v[106:107]
	v_fma_f64 v[184:185], v[4:5], s[26:27], v[184:185]
	v_fma_f64 v[186:187], v[4:5], s[26:27], v[186:187]
	;; [unrolled: 1-line block ×3, first 2 shown]
	scratch_load_b32 v227, off, off offset:48 ; 4-byte Folded Reload
	v_fma_f64 v[29:30], v[29:30], s[28:29], v[233:234]
	v_fma_f64 v[45:46], v[45:46], s[24:25], -v[108:109]
	v_fma_f64 v[108:109], v[49:50], s[22:23], v[12:13]
	v_fma_f64 v[49:50], v[49:50], s[24:25], -v[221:222]
	scratch_load_b32 v221, off, off offset:116 ; 4-byte Folded Reload
	v_fma_f64 v[12:13], v[47:48], s[4:5], -v[12:13]
	scratch_load_b32 v222, off, off offset:84 ; 4-byte Folded Reload
	v_fma_f64 v[10:11], v[2:3], s[26:27], v[10:11]
	v_add_f64_e32 v[8:9], v[188:189], v[18:19]
	v_add_f64_e32 v[188:189], v[190:191], v[18:19]
	;; [unrolled: 1-line block ×3, first 2 shown]
	v_fma_f64 v[18:19], v[2:3], s[26:27], v[20:21]
	v_fma_f64 v[2:3], v[2:3], s[26:27], v[22:23]
	;; [unrolled: 1-line block ×5, first 2 shown]
	scratch_load_b32 v225, off, off offset:64 ; 4-byte Folded Reload
	v_fma_f64 v[39:40], v[53:54], s[26:27], v[51:52]
	v_add_f64_e32 v[112:113], v[112:113], v[41:42]
	v_add_f64_e32 v[14:15], v[14:15], v[41:42]
	;; [unrolled: 1-line block ×3, first 2 shown]
	v_fma_f64 v[41:42], v[53:54], s[26:27], v[43:44]
	v_add_f64_e32 v[20:21], v[219:220], v[29:30]
	v_add_f64_e32 v[6:7], v[6:7], v[29:30]
	;; [unrolled: 1-line block ×3, first 2 shown]
	v_fma_f64 v[45:46], v[53:54], s[26:27], v[45:46]
	v_fma_f64 v[51:52], v[180:181], s[26:27], v[108:109]
	;; [unrolled: 1-line block ×4, first 2 shown]
	v_add_f64_e64 v[180:181], v[0:1], -v[186:187]
	s_wait_loadcnt 0x8
	v_add_f64_e32 v[242:243], v[212:213], v[104:105]
	v_mul_f64_e32 v[212:213], s[12:13], v[33:34]
	v_fma_f64 v[33:34], v[33:34], s[12:13], v[31:32]
	v_fma_f64 v[31:32], v[238:239], s[14:15], -v[31:32]
	s_wait_loadcnt 0x7
	v_add_f64_e32 v[216:217], v[216:217], v[182:183]
	s_wait_loadcnt 0x6
	v_lshl_add_u32 v231, v237, 3, 0
	s_wait_loadcnt 0x5
	v_lshl_add_u32 v220, v228, 3, 0
	;; [unrolled: 2-line block ×3, first 2 shown]
	v_fma_f64 v[104:105], v[104:105], s[28:29], v[242:243]
	v_fma_f64 v[47:48], v[238:239], s[10:11], -v[212:213]
	v_fma_f64 v[182:183], v[182:183], s[28:29], v[216:217]
	s_delay_alu instid0(VALU_DEP_3)
	v_add_f64_e32 v[43:44], v[110:111], v[104:105]
	v_add_f64_e32 v[25:26], v[25:26], v[104:105]
	v_add_f64_e32 v[27:28], v[27:28], v[104:105]
	v_add_f64_e32 v[104:105], v[4:5], v[188:189]
	v_add_f64_e64 v[4:5], v[188:189], -v[4:5]
	v_add_nc_u32_e32 v110, 0xc00, v229
	v_add_f64_e32 v[47:48], v[47:48], v[182:183]
	v_add_f64_e32 v[33:34], v[33:34], v[182:183]
	;; [unrolled: 1-line block ×5, first 2 shown]
	v_add_f64_e64 v[14:15], v[14:15], -v[37:38]
	v_add_f64_e32 v[37:38], v[22:23], v[16:17]
	v_add_f64_e64 v[16:17], v[16:17], -v[22:23]
	v_add_f64_e64 v[22:23], v[43:44], -v[41:42]
	v_add_f64_e32 v[41:42], v[41:42], v[43:44]
	v_add_f64_e32 v[43:44], v[45:46], v[25:26]
	v_add_f64_e64 v[25:26], v[25:26], -v[45:46]
	v_add_f64_e32 v[45:46], v[39:40], v[27:28]
	v_add_f64_e64 v[27:28], v[27:28], -v[39:40]
	v_add_f64_e64 v[39:40], v[47:48], -v[12:13]
	v_add_f64_e32 v[12:13], v[12:13], v[47:48]
	v_add_f64_e32 v[47:48], v[51:52], v[33:34]
	v_add_f64_e64 v[0:1], v[33:34], -v[51:52]
	s_clause 0x1
	scratch_load_b32 v52, off, off offset:88
	scratch_load_b32 v226, off, off offset:72
	s_wait_loadcnt 0x4
	v_lshrrev_b32_e32 v212, 2, v221
	s_wait_loadcnt 0x2
	v_lshrrev_b32_e32 v53, 2, v225
	v_add_f64_e32 v[188:189], v[49:50], v[31:32]
	v_add_f64_e64 v[31:32], v[31:32], -v[49:50]
	v_lshrrev_b32_e32 v190, 2, v227
	v_mul_lo_u32 v191, v212, 28
	v_mul_lo_u32 v212, v53, 28
	v_add_f64_e32 v[53:54], v[184:185], v[8:9]
	v_add_f64_e64 v[8:9], v[8:9], -v[184:185]
	v_add_f64_e64 v[184:185], v[20:21], -v[18:19]
	v_add_f64_e32 v[18:19], v[18:19], v[20:21]
	v_add_f64_e32 v[20:21], v[2:3], v[6:7]
	v_add_f64_e64 v[2:3], v[6:7], -v[2:3]
	v_add_f64_e32 v[6:7], v[10:11], v[29:30]
	v_add_f64_e64 v[10:11], v[29:30], -v[10:11]
	v_add_f64_e64 v[29:30], v[112:113], -v[35:36]
	v_add_f64_e32 v[35:36], v[35:36], v[112:113]
	v_mul_lo_u32 v190, v190, 28
	v_or_b32_e32 v34, v55, v24
	v_or_b32_e32 v49, v191, v24
	v_or_b32_e32 v51, v212, v24
	ds_load_b64 v[106:107], v222
	v_add_nc_u32_e32 v111, 0x1400, v229
	v_lshl_add_u32 v215, v34, 3, 0
	v_lshl_add_u32 v213, v49, 3, 0
	v_or_b32_e32 v50, v190, v24
	v_lshl_add_u32 v212, v51, 3, 0
	v_add_nc_u32_e32 v112, 0x3400, v229
	s_delay_alu instid0(VALU_DEP_3) | instskip(SKIP_2) | instid1(VALU_DEP_1)
	v_lshl_add_u32 v214, v50, 3, 0
	s_wait_loadcnt 0x0
	v_lshrrev_b32_e32 v108, 2, v226
	v_mul_lo_u32 v33, v108, 28
	ds_load_b64 v[108:109], v52
	global_wb scope:SCOPE_SE
	s_wait_storecnt_dscnt 0x0
	s_barrier_signal -1
	s_barrier_wait -1
	global_inv scope:SCOPE_SE
	v_or_b32_e32 v24, v33, v24
	s_delay_alu instid0(VALU_DEP_1)
	v_lshl_add_u32 v113, v24, 3, 0
	ds_store_2addr_b64 v215, v[223:224], v[53:54] offset1:4
	ds_store_2addr_b64 v215, v[104:105], v[180:181] offset0:8 offset1:12
	ds_store_2addr_b64 v215, v[182:183], v[4:5] offset0:16 offset1:20
	ds_store_b64 v215, v[8:9] offset:192
	ds_store_2addr_b64 v213, v[233:234], v[6:7] offset1:4
	ds_store_2addr_b64 v213, v[20:21], v[184:185] offset0:8 offset1:12
	ds_store_2addr_b64 v213, v[18:19], v[2:3] offset0:16 offset1:20
	ds_store_b64 v213, v[10:11] offset:192
	;; [unrolled: 4-line block ×4, first 2 shown]
	ds_store_2addr_b64 v113, v[216:217], v[47:48] offset1:4
	v_mov_b32_e32 v216, v52
	v_add_nc_u32_e32 v2, 0x2000, v229
	scratch_load_b32 v186, off, off offset:80 ; 4-byte Folded Reload
	ds_store_2addr_b64 v113, v[188:189], v[39:40] offset0:8 offset1:12
	ds_store_2addr_b64 v113, v[12:13], v[31:32] offset0:16 offset1:20
	ds_store_b64 v113, v[0:1] offset:192
	global_wb scope:SCOPE_SE
	s_wait_loadcnt_dscnt 0x0
	s_barrier_signal -1
	s_barrier_wait -1
	global_inv scope:SCOPE_SE
	ds_load_b64 v[104:105], v229
	ds_load_2addr_b64 v[36:39], v230 offset0:84 offset1:140
	ds_load_2addr_b64 v[32:35], v2 offset0:68 offset1:124
	;; [unrolled: 1-line block ×4, first 2 shown]
	ds_load_b64 v[190:191], v52
	s_clause 0x1
	scratch_store_b32 off, v235, off offset:92
	scratch_store_b32 off, v220, off offset:132
	ds_load_b64 v[188:189], v235
	ds_load_b64 v[184:185], v220
	;; [unrolled: 1-line block ×3, first 2 shown]
	scratch_load_b32 v2, off, off offset:16 ; 4-byte Folded Reload
	scratch_store_b32 off, v231, off offset:136 ; 4-byte Folded Spill
	v_mov_b32_e32 v217, v219
	v_mov_b32_e32 v187, v222
	s_wait_loadcnt 0x0
	ds_load_b64 v[4:5], v2
	ds_load_b64 v[180:181], v231
	ds_load_2addr_b64 v[28:31], v195 offset0:148 offset1:204
	ds_load_2addr_b64 v[16:19], v194 offset0:4 offset1:60
	;; [unrolled: 1-line block ×5, first 2 shown]
	ds_load_b64 v[192:193], v222
	ds_load_b64 v[194:195], v186
	ds_load_b64 v[2:3], v229 offset:15008
	s_wait_dscnt 0x0
	scratch_store_b64 off, v[2:3], off offset:148 ; 8-byte Folded Spill
	ds_load_2addr_b64 v[52:55], v110 offset0:120 offset1:176
	ds_load_2addr_b64 v[44:47], v111 offset0:88 offset1:144
	;; [unrolled: 1-line block ×3, first 2 shown]
	s_and_saveexec_b32 s1, s0
	s_cbranch_execz .LBB0_21
; %bb.20:
	ds_load_b64 v[0:1], v229 offset:7616
	ds_load_b64 v[2:3], v229 offset:15456
	s_wait_dscnt 0x0
	scratch_store_b128 off, v[0:3], off offset:100 ; 16-byte Folded Spill
.LBB0_21:
	s_wait_alu 0xfffe
	s_or_b32 exec_lo, exec_lo, s1
	v_add_f64_e32 v[2:3], v[206:207], v[210:211]
	v_add_f64_e32 v[6:7], v[198:199], v[208:209]
	;; [unrolled: 1-line block ×11, first 2 shown]
	v_add_f64_e64 v[96:97], v[96:97], -v[128:129]
	v_add_f64_e64 v[124:125], v[132:133], -v[124:125]
	v_add_f64_e64 v[122:123], v[122:123], -v[126:127]
	v_add_f64_e32 v[126:127], v[152:153], v[150:151]
	v_add_f64_e64 v[64:65], v[64:65], -v[80:81]
	v_add_f64_e64 v[80:81], v[102:103], -v[134:135]
	v_add_f64_e64 v[84:85], v[98:99], -v[84:85]
	v_add_f64_e32 v[98:99], v[144:145], v[154:155]
	;; [unrolled: 4-line block ×3, first 2 shown]
	v_add_f64_e64 v[62:63], v[62:63], -v[90:91]
	v_add_f64_e64 v[86:87], v[86:87], -v[156:157]
	;; [unrolled: 1-line block ×4, first 2 shown]
	v_add_f64_e32 v[82:83], v[140:141], v[82:83]
	v_add_f64_e64 v[74:75], v[74:75], -v[78:79]
	v_add_f64_e64 v[56:57], v[56:57], -v[120:121]
	global_wb scope:SCOPE_SE
	s_wait_storecnt_dscnt 0x0
	s_barrier_signal -1
	s_barrier_wait -1
	global_inv scope:SCOPE_SE
	v_add_f64_e32 v[128:129], v[6:7], v[2:3]
	v_add_f64_e32 v[102:103], v[166:167], v[174:175]
	v_add_f64_e64 v[158:159], v[166:167], -v[174:175]
	v_add_f64_e32 v[76:77], v[160:161], v[164:165]
	v_add_f64_e32 v[90:91], v[138:139], v[162:163]
	;; [unrolled: 1-line block ×3, first 2 shown]
	v_add_f64_e64 v[94:95], v[2:3], -v[68:69]
	v_add_f64_e64 v[120:121], v[68:69], -v[6:7]
	;; [unrolled: 1-line block ×12, first 2 shown]
	v_add_f64_e32 v[66:67], v[88:89], v[66:67]
	v_add_f64_e64 v[150:151], v[86:87], -v[62:63]
	v_add_f64_e64 v[6:7], v[62:63], -v[72:73]
	v_add_f64_e32 v[62:63], v[86:87], v[62:63]
	v_add_f64_e64 v[88:89], v[60:61], -v[88:89]
	v_add_f64_e64 v[152:153], v[74:75], -v[58:59]
	v_add_f64_e64 v[154:155], v[58:59], -v[56:57]
	v_add_f64_e32 v[58:59], v[74:75], v[58:59]
	v_add_f64_e64 v[138:139], v[138:139], -v[162:163]
	;; [unrolled: 4-line block ×3, first 2 shown]
	v_add_f64_e32 v[102:103], v[126:127], v[102:103]
	v_add_f64_e64 v[126:127], v[98:99], -v[160:161]
	v_add_f64_e32 v[76:77], v[98:99], v[76:77]
	v_add_f64_e64 v[98:99], v[162:163], -v[92:93]
	v_add_f64_e32 v[90:91], v[92:93], v[90:91]
	v_add_f64_e32 v[92:93], v[124:125], v[96:97]
	v_add_f64_e64 v[96:97], v[70:71], -v[82:83]
	v_add_f64_e32 v[78:79], v[82:83], v[78:79]
	v_add_f64_e32 v[64:65], v[80:81], v[64:65]
	v_add_f64_e64 v[82:83], v[82:83], -v[100:101]
	v_add_f64_e64 v[124:125], v[122:123], -v[124:125]
	v_mul_f64_e32 v[94:95], s[18:19], v[94:95]
	v_mul_f64_e32 v[130:131], s[20:21], v[130:131]
	;; [unrolled: 1-line block ×4, first 2 shown]
	v_add_f64_e64 v[80:81], v[84:85], -v[80:81]
	v_mul_f64_e32 v[134:135], s[18:19], v[134:135]
	v_add_f64_e64 v[160:161], v[160:161], -v[164:165]
	v_mul_f64_e32 v[164:165], s[4:5], v[140:141]
	v_mul_f64_e32 v[168:169], s[12:13], v[136:137]
	;; [unrolled: 1-line block ×6, first 2 shown]
	v_add_f64_e64 v[70:71], v[100:101], -v[70:71]
	v_mul_f64_e32 v[100:101], s[4:5], v[6:7]
	v_mul_f64_e32 v[172:173], s[12:13], v[148:149]
	;; [unrolled: 1-line block ×3, first 2 shown]
	v_add_f64_e32 v[62:63], v[62:63], v[72:73]
	v_add_f64_e32 v[56:57], v[58:59], v[56:57]
	;; [unrolled: 1-line block ×4, first 2 shown]
	v_mul_f64_e32 v[128:129], s[20:21], v[128:129]
	v_add_f64_e32 v[116:117], v[116:117], v[102:103]
	v_mul_f64_e32 v[170:171], s[12:13], v[126:127]
	v_add_f64_e32 v[106:107], v[106:107], v[76:77]
	;; [unrolled: 2-line block ×3, first 2 shown]
	v_add_f64_e32 v[92:93], v[92:93], v[122:123]
	v_mul_f64_e32 v[96:97], s[18:19], v[96:97]
	v_mul_f64_e32 v[122:123], s[4:5], v[154:155]
	v_add_f64_e32 v[114:115], v[114:115], v[78:79]
	v_add_f64_e32 v[64:65], v[64:65], v[84:85]
	v_mul_f64_e32 v[84:85], s[12:13], v[82:83]
	v_fma_f64 v[58:59], v[120:121], s[12:13], v[94:95]
	v_fma_f64 v[72:73], v[124:125], s[22:23], v[130:131]
	v_fma_f64 v[66:67], v[2:3], s[10:11], -v[156:157]
	v_fma_f64 v[2:3], v[2:3], s[14:15], -v[94:95]
	;; [unrolled: 1-line block ×4, first 2 shown]
	v_fma_f64 v[124:125], v[136:137], s[12:13], v[134:135]
	v_fma_f64 v[132:133], v[158:159], s[14:15], -v[134:135]
	v_fma_f64 v[130:131], v[158:159], s[10:11], -v[168:169]
	v_fma_f64 v[126:127], v[126:127], s[12:13], v[142:143]
	v_fma_f64 v[156:157], v[86:87], s[22:23], v[150:151]
	v_fma_f64 v[6:7], v[6:7], s[4:5], -v[150:151]
	v_fma_f64 v[86:87], v[86:87], s[24:25], -v[100:101]
	v_fma_f64 v[100:101], v[74:75], s[22:23], v[152:153]
	v_fma_f64 v[68:69], v[68:69], s[28:29], v[118:119]
	;; [unrolled: 1-line block ×3, first 2 shown]
	v_fma_f64 v[128:129], v[140:141], s[4:5], -v[128:129]
	v_fma_f64 v[80:81], v[80:81], s[24:25], -v[164:165]
	v_fma_f64 v[102:103], v[102:103], s[28:29], v[116:117]
	v_fma_f64 v[140:141], v[160:161], s[14:15], -v[142:143]
	v_fma_f64 v[142:143], v[88:89], s[22:23], v[144:145]
	v_fma_f64 v[144:145], v[146:147], s[4:5], -v[144:145]
	v_fma_f64 v[88:89], v[88:89], s[24:25], -v[162:163]
	v_fma_f64 v[76:77], v[76:77], s[28:29], v[106:107]
	v_fma_f64 v[136:137], v[160:161], s[10:11], -v[170:171]
	v_fma_f64 v[146:147], v[148:149], s[12:13], v[98:99]
	v_fma_f64 v[90:91], v[90:91], s[28:29], v[108:109]
	v_fma_f64 v[148:149], v[138:139], s[10:11], -v[172:173]
	v_fma_f64 v[98:99], v[138:139], s[14:15], -v[98:99]
	v_fma_f64 v[82:83], v[82:83], s[12:13], v[96:97]
	v_fma_f64 v[138:139], v[154:155], s[4:5], -v[152:153]
	v_fma_f64 v[74:75], v[74:75], s[24:25], -v[122:123]
	;; [unrolled: 3-line block ×3, first 2 shown]
	v_fma_f64 v[72:73], v[92:93], s[26:27], v[72:73]
	v_fma_f64 v[84:85], v[92:93], s[26:27], v[94:95]
	;; [unrolled: 1-line block ×5, first 2 shown]
	v_add_f64_e32 v[58:59], v[58:59], v[68:69]
	v_add_f64_e32 v[2:3], v[2:3], v[68:69]
	;; [unrolled: 1-line block ×3, first 2 shown]
	v_fma_f64 v[68:69], v[64:65], s[26:27], v[134:135]
	v_fma_f64 v[94:95], v[64:65], s[26:27], v[128:129]
	;; [unrolled: 1-line block ×3, first 2 shown]
	v_add_f64_e32 v[80:81], v[124:125], v[102:103]
	v_add_f64_e32 v[120:121], v[132:133], v[102:103]
	;; [unrolled: 1-line block ×3, first 2 shown]
	v_fma_f64 v[122:123], v[60:61], s[26:27], v[142:143]
	v_fma_f64 v[124:125], v[60:61], s[26:27], v[144:145]
	;; [unrolled: 1-line block ×3, first 2 shown]
	v_add_f64_e32 v[88:89], v[126:127], v[76:77]
	v_add_f64_e32 v[126:127], v[140:141], v[76:77]
	;; [unrolled: 1-line block ×3, first 2 shown]
	v_fma_f64 v[128:129], v[62:63], s[26:27], v[156:157]
	v_fma_f64 v[62:63], v[62:63], s[26:27], v[86:87]
	v_add_f64_e32 v[86:87], v[146:147], v[90:91]
	v_add_f64_e32 v[98:99], v[98:99], v[90:91]
	;; [unrolled: 1-line block ×3, first 2 shown]
	v_fma_f64 v[130:131], v[56:57], s[26:27], v[138:139]
	v_fma_f64 v[56:57], v[56:57], s[26:27], v[74:75]
	v_add_f64_e32 v[74:75], v[82:83], v[78:79]
	v_add_f64_e32 v[82:83], v[96:97], v[78:79]
	;; [unrolled: 1-line block ×3, first 2 shown]
	v_add_f64_e64 v[78:79], v[58:59], -v[72:73]
	v_add_f64_e64 v[96:97], v[2:3], -v[92:93]
	v_add_f64_e32 v[132:133], v[84:85], v[66:67]
	v_add_f64_e64 v[66:67], v[66:67], -v[84:85]
	v_add_f64_e32 v[2:3], v[92:93], v[2:3]
	v_add_f64_e32 v[58:59], v[72:73], v[58:59]
	v_add_f64_e64 v[72:73], v[80:81], -v[68:69]
	v_add_f64_e64 v[84:85], v[120:121], -v[64:65]
	v_add_f64_e32 v[92:93], v[94:95], v[102:103]
	v_add_f64_e64 v[94:95], v[102:103], -v[94:95]
	v_add_f64_e32 v[64:65], v[64:65], v[120:121]
	v_add_f64_e32 v[68:69], v[68:69], v[80:81]
	;; [unrolled: 6-line block ×5, first 2 shown]
	v_add_nc_u32_e32 v74, 0x1c00, v229
	v_add_nc_u32_e32 v75, 0x2000, v229
	;; [unrolled: 1-line block ×6, first 2 shown]
	ds_store_2addr_b64 v215, v[118:119], v[78:79] offset1:4
	ds_store_2addr_b64 v215, v[96:97], v[132:133] offset0:8 offset1:12
	ds_store_2addr_b64 v215, v[66:67], v[2:3] offset0:16 offset1:20
	ds_store_b64 v215, v[58:59] offset:192
	ds_store_2addr_b64 v213, v[116:117], v[72:73] offset1:4
	ds_store_2addr_b64 v213, v[84:85], v[92:93] offset0:8 offset1:12
	ds_store_2addr_b64 v213, v[94:95], v[64:65] offset0:16 offset1:20
	ds_store_b64 v213, v[68:69] offset:192
	ds_store_2addr_b64 v214, v[106:107], v[80:81] offset1:4
	ds_store_2addr_b64 v214, v[102:103], v[120:121] offset0:8 offset1:12
	ds_store_2addr_b64 v214, v[76:77], v[60:61] offset0:16 offset1:20
	ds_store_b64 v214, v[88:89] offset:192
	ds_store_2addr_b64 v212, v[108:109], v[122:123] offset1:4
	ds_store_2addr_b64 v212, v[124:125], v[126:127] offset0:8 offset1:12
	ds_store_2addr_b64 v212, v[6:7], v[62:63] offset0:16 offset1:20
	ds_store_b64 v212, v[86:87] offset:192
	ds_store_2addr_b64 v113, v[114:115], v[90:91] offset1:4
	ds_store_2addr_b64 v113, v[98:99], v[128:129] offset0:8 offset1:12
	ds_store_2addr_b64 v113, v[70:71], v[56:57] offset0:16 offset1:20
	ds_store_b64 v113, v[196:197] offset:192
	global_wb scope:SCOPE_SE
	s_wait_dscnt 0x0
	s_barrier_signal -1
	s_barrier_wait -1
	global_inv scope:SCOPE_SE
	ds_load_b64 v[198:199], v229
	ds_load_2addr_b64 v[80:83], v74 offset0:84 offset1:140
	ds_load_b64 v[200:201], v187
	ds_load_2addr_b64 v[84:87], v75 offset0:68 offset1:124
	ds_load_2addr_b64 v[76:79], v75 offset0:180 offset1:236
	;; [unrolled: 1-line block ×3, first 2 shown]
	ds_load_b64 v[206:207], v216
	scratch_load_b32 v2, off, off offset:92 ; 4-byte Folded Reload
	scratch_store_b32 off, v217, off offset:124 ; 4-byte Folded Spill
	ds_load_b64 v[204:205], v217
	s_wait_loadcnt 0x0
	ds_load_b64 v[208:209], v2
	v_lshl_add_u32 v2, v228, 3, 0
	ds_load_b64 v[202:203], v2
	scratch_load_b32 v2, off, off offset:16 ; 4-byte Folded Reload
	s_wait_loadcnt 0x0
	ds_load_b64 v[212:213], v2
	v_lshl_add_u32 v2, v237, 3, 0
	ds_load_b64 v[210:211], v2
	ds_load_2addr_b64 v[88:91], v100 offset0:148 offset1:204
	ds_load_2addr_b64 v[56:59], v110 offset0:120 offset1:176
	;; [unrolled: 1-line block ×8, first 2 shown]
	ds_load_b64 v[214:215], v186
	ds_load_b64 v[216:217], v229 offset:15008
	s_and_saveexec_b32 s1, s0
	s_cbranch_execz .LBB0_23
; %bb.22:
	ds_load_b64 v[196:197], v229 offset:7616
	ds_load_b64 v[2:3], v229 offset:15456
	s_wait_dscnt 0x0
	scratch_store_b128 off, v[0:3], off offset:32 ; 16-byte Folded Spill
.LBB0_23:
	s_wait_alu 0xfffe
	s_or_b32 exec_lo, exec_lo, s1
	v_subrev_nc_u32_e32 v2, 28, v218
	v_mov_b32_e32 v3, 0
	v_lshrrev_b16 v127, 2, v228
	v_mov_b32_e32 v186, v218
	s_delay_alu instid0(VALU_DEP_4) | instskip(NEXT) | instid1(VALU_DEP_3)
	v_cndmask_b32_e64 v2, v2, v218, s0
	v_and_b32_e32 v127, 0xffff, v127
	s_delay_alu instid0(VALU_DEP_2) | instskip(SKIP_2) | instid1(VALU_DEP_4)
	v_lshlrev_b64_e32 v[6:7], 4, v[2:3]
	v_lshrrev_b16 v3, 2, v232
	v_lshlrev_b32_e32 v2, 3, v2
	v_mul_u32_u24_e32 v127, 0x4925, v127
	s_delay_alu instid0(VALU_DEP_3) | instskip(SKIP_3) | instid1(VALU_DEP_3)
	v_and_b32_e32 v3, 0xffff, v3
	v_add_co_u32 v106, s1, s8, v6
	s_wait_alu 0xf1ff
	v_add_co_ci_u32_e64 v107, s1, s9, v7, s1
	v_mul_u32_u24_e32 v3, 0x4925, v3
	v_cmp_lt_u32_e64 s1, 27, v218
	v_lshrrev_b32_e32 v224, 17, v127
	s_delay_alu instid0(VALU_DEP_3) | instskip(NEXT) | instid1(VALU_DEP_2)
	v_lshrrev_b32_e32 v236, 17, v3
	v_mul_lo_u16 v127, v224, 28
	s_delay_alu instid0(VALU_DEP_2) | instskip(NEXT) | instid1(VALU_DEP_2)
	v_mul_lo_u16 v3, v236, 28
	v_sub_nc_u16 v127, v228, v127
	s_delay_alu instid0(VALU_DEP_2) | instskip(SKIP_1) | instid1(VALU_DEP_3)
	v_sub_nc_u16 v116, v232, v3
	v_lshrrev_b16 v3, 2, v237
	v_and_b32_e32 v233, 0xffff, v127
	s_delay_alu instid0(VALU_DEP_3) | instskip(NEXT) | instid1(VALU_DEP_3)
	v_and_b32_e32 v248, 0xffff, v116
	v_and_b32_e32 v3, 0xffff, v3
	s_delay_alu instid0(VALU_DEP_3) | instskip(NEXT) | instid1(VALU_DEP_3)
	v_lshlrev_b32_e32 v132, 4, v233
	v_lshlrev_b32_e32 v136, 4, v248
	s_delay_alu instid0(VALU_DEP_3) | instskip(NEXT) | instid1(VALU_DEP_1)
	v_mul_u32_u24_e32 v3, 0x4925, v3
	v_lshrrev_b32_e32 v238, 17, v3
	s_delay_alu instid0(VALU_DEP_1) | instskip(NEXT) | instid1(VALU_DEP_1)
	v_mul_lo_u16 v3, v238, 28
	v_sub_nc_u16 v117, v237, v3
	v_add_nc_u16 v3, v218, 0x1f8
	s_delay_alu instid0(VALU_DEP_2) | instskip(NEXT) | instid1(VALU_DEP_2)
	v_and_b32_e32 v249, 0xffff, v117
	v_lshrrev_b16 v6, 2, v3
	s_delay_alu instid0(VALU_DEP_2) | instskip(NEXT) | instid1(VALU_DEP_2)
	v_lshlrev_b32_e32 v140, 4, v249
	v_and_b32_e32 v6, 0xffff, v6
	s_delay_alu instid0(VALU_DEP_1) | instskip(NEXT) | instid1(VALU_DEP_1)
	v_mul_u32_u24_e32 v6, 0x4925, v6
	v_lshrrev_b32_e32 v237, 17, v6
	s_delay_alu instid0(VALU_DEP_1) | instskip(NEXT) | instid1(VALU_DEP_1)
	v_mul_lo_u16 v6, v237, 28
	v_sub_nc_u16 v118, v3, v6
	v_add_nc_u16 v3, v218, 0x230
	s_delay_alu instid0(VALU_DEP_2) | instskip(NEXT) | instid1(VALU_DEP_2)
	v_and_b32_e32 v250, 0xffff, v118
	v_lshrrev_b16 v6, 2, v3
	s_delay_alu instid0(VALU_DEP_2) | instskip(NEXT) | instid1(VALU_DEP_2)
	v_lshlrev_b32_e32 v144, 4, v250
	v_and_b32_e32 v6, 0xffff, v6
	s_delay_alu instid0(VALU_DEP_1) | instskip(NEXT) | instid1(VALU_DEP_1)
	v_mul_u32_u24_e32 v6, 0x4925, v6
	v_lshrrev_b32_e32 v234, 17, v6
	s_delay_alu instid0(VALU_DEP_1) | instskip(NEXT) | instid1(VALU_DEP_1)
	v_mul_lo_u16 v6, v234, 28
	v_sub_nc_u16 v6, v3, v6
	v_add_nc_u16 v3, v218, 0x268
	s_delay_alu instid0(VALU_DEP_2) | instskip(NEXT) | instid1(VALU_DEP_2)
	v_and_b32_e32 v251, 0xffff, v6
	v_lshrrev_b16 v7, 2, v3
	s_delay_alu instid0(VALU_DEP_2) | instskip(NEXT) | instid1(VALU_DEP_2)
	v_lshlrev_b32_e32 v148, 4, v251
	v_and_b32_e32 v7, 0xffff, v7
	s_delay_alu instid0(VALU_DEP_1) | instskip(NEXT) | instid1(VALU_DEP_1)
	v_mul_u32_u24_e32 v7, 0x4925, v7
	v_lshrrev_b32_e32 v235, 17, v7
	s_delay_alu instid0(VALU_DEP_1) | instskip(NEXT) | instid1(VALU_DEP_1)
	v_mul_lo_u16 v7, v235, 28
	v_sub_nc_u16 v7, v3, v7
	v_add_nc_u16 v3, v218, 0x2a0
	s_delay_alu instid0(VALU_DEP_2) | instskip(NEXT) | instid1(VALU_DEP_2)
	v_and_b32_e32 v252, 0xffff, v7
	v_lshrrev_b16 v108, 2, v3
	s_delay_alu instid0(VALU_DEP_2) | instskip(NEXT) | instid1(VALU_DEP_2)
	v_lshlrev_b32_e32 v152, 4, v252
	v_and_b32_e32 v108, 0xffff, v108
	s_delay_alu instid0(VALU_DEP_1) | instskip(NEXT) | instid1(VALU_DEP_1)
	v_mul_u32_u24_e32 v108, 0x4925, v108
	v_lshrrev_b32_e32 v240, 17, v108
	s_delay_alu instid0(VALU_DEP_1) | instskip(NEXT) | instid1(VALU_DEP_1)
	v_mul_lo_u16 v108, v240, 28
	v_sub_nc_u16 v119, v3, v108
	v_add_nc_u16 v3, v218, 0x2d8
	s_delay_alu instid0(VALU_DEP_2) | instskip(NEXT) | instid1(VALU_DEP_2)
	v_and_b32_e32 v253, 0xffff, v119
	v_lshrrev_b16 v108, 2, v3
	s_delay_alu instid0(VALU_DEP_2) | instskip(NEXT) | instid1(VALU_DEP_2)
	v_lshlrev_b32_e32 v156, 4, v253
	v_and_b32_e32 v108, 0xffff, v108
	s_delay_alu instid0(VALU_DEP_1) | instskip(NEXT) | instid1(VALU_DEP_1)
	v_mul_u32_u24_e32 v108, 0x4925, v108
	v_lshrrev_b32_e32 v244, 17, v108
	s_delay_alu instid0(VALU_DEP_1) | instskip(NEXT) | instid1(VALU_DEP_1)
	v_mul_lo_u16 v108, v244, 28
	v_sub_nc_u16 v120, v3, v108
	v_add_nc_u16 v3, v218, 0x310
	s_delay_alu instid0(VALU_DEP_2) | instskip(NEXT) | instid1(VALU_DEP_2)
	v_and_b32_e32 v254, 0xffff, v120
	v_lshrrev_b16 v108, 2, v3
	s_delay_alu instid0(VALU_DEP_2) | instskip(NEXT) | instid1(VALU_DEP_2)
	v_lshlrev_b32_e32 v160, 4, v254
	v_and_b32_e32 v108, 0xffff, v108
	s_delay_alu instid0(VALU_DEP_1) | instskip(NEXT) | instid1(VALU_DEP_1)
	v_mul_u32_u24_e32 v108, 0x4925, v108
	v_lshrrev_b32_e32 v242, 17, v108
	s_delay_alu instid0(VALU_DEP_1) | instskip(NEXT) | instid1(VALU_DEP_1)
	v_mul_lo_u16 v108, v242, 28
	v_sub_nc_u16 v121, v3, v108
	v_add_nc_u16 v3, v218, 0x348
	s_delay_alu instid0(VALU_DEP_2) | instskip(NEXT) | instid1(VALU_DEP_2)
	v_and_b32_e32 v255, 0xffff, v121
	v_lshrrev_b16 v108, 2, v3
	s_delay_alu instid0(VALU_DEP_2) | instskip(NEXT) | instid1(VALU_DEP_2)
	v_lshlrev_b32_e32 v164, 4, v255
	v_and_b32_e32 v108, 0xffff, v108
	s_delay_alu instid0(VALU_DEP_1) | instskip(NEXT) | instid1(VALU_DEP_1)
	v_mul_u32_u24_e32 v108, 0x4925, v108
	v_lshrrev_b32_e32 v243, 17, v108
	s_delay_alu instid0(VALU_DEP_1) | instskip(NEXT) | instid1(VALU_DEP_1)
	v_mul_lo_u16 v108, v243, 28
	v_sub_nc_u16 v122, v3, v108
	v_or_b32_e32 v3, 0x380, v218
	s_delay_alu instid0(VALU_DEP_2) | instskip(NEXT) | instid1(VALU_DEP_2)
	v_and_b32_e32 v231, 0xffff, v122
	v_lshrrev_b16 v108, 2, v3
	s_delay_alu instid0(VALU_DEP_2) | instskip(NEXT) | instid1(VALU_DEP_2)
	v_lshlrev_b32_e32 v168, 4, v231
	v_and_b32_e32 v108, 0xffff, v108
	s_delay_alu instid0(VALU_DEP_1) | instskip(NEXT) | instid1(VALU_DEP_1)
	v_mul_u32_u24_e32 v108, 0x4925, v108
	v_lshrrev_b32_e32 v241, 17, v108
	s_delay_alu instid0(VALU_DEP_1) | instskip(NEXT) | instid1(VALU_DEP_1)
	v_mul_lo_u16 v108, v241, 28
	v_sub_nc_u16 v123, v3, v108
	v_add_nc_u16 v3, v218, 0x3b8
	s_delay_alu instid0(VALU_DEP_2) | instskip(NEXT) | instid1(VALU_DEP_2)
	v_and_b32_e32 v232, 0xffff, v123
	v_lshrrev_b16 v108, 2, v3
	s_delay_alu instid0(VALU_DEP_2) | instskip(NEXT) | instid1(VALU_DEP_2)
	v_lshlrev_b32_e32 v172, 4, v232
	v_and_b32_e32 v108, 0xffff, v108
	s_delay_alu instid0(VALU_DEP_1) | instskip(NEXT) | instid1(VALU_DEP_1)
	v_mul_u32_u24_e32 v108, 0x4925, v108
	v_lshrrev_b32_e32 v108, 17, v108
	s_delay_alu instid0(VALU_DEP_1) | instskip(NEXT) | instid1(VALU_DEP_1)
	v_mul_lo_u16 v108, v108, 28
	v_sub_nc_u16 v124, v3, v108
	s_wait_alu 0xf1ff
	v_cndmask_b32_e64 v3, 0, 0x1c0, s1
	s_delay_alu instid0(VALU_DEP_1) | instskip(SKIP_1) | instid1(VALU_DEP_1)
	v_add3_u32 v239, 0, v3, v2
	v_lshrrev_b16 v2, 2, v221
	v_and_b32_e32 v2, 63, v2
	s_delay_alu instid0(VALU_DEP_1) | instskip(NEXT) | instid1(VALU_DEP_1)
	v_mul_lo_u16 v2, v2, 37
	v_lshrrev_b16 v218, 8, v2
	s_delay_alu instid0(VALU_DEP_1) | instskip(NEXT) | instid1(VALU_DEP_1)
	v_mul_lo_u16 v2, v218, 28
	v_sub_nc_u16 v2, v221, v2
	s_delay_alu instid0(VALU_DEP_1) | instskip(SKIP_1) | instid1(VALU_DEP_1)
	v_and_b32_e32 v219, 0xff, v2
	v_lshrrev_b16 v2, 2, v227
	v_and_b32_e32 v125, 63, v2
	s_delay_alu instid0(VALU_DEP_3)
	v_lshlrev_b32_e32 v2, 4, v219
	s_clause 0x1
	global_load_b128 v[108:111], v[106:107], off offset:384
	global_load_b128 v[112:115], v2, s[8:9] offset:384
	scratch_load_b32 v128, off, off         ; 4-byte Folded Reload
	v_lshrrev_b16 v106, 2, v225
	v_lshrrev_b16 v107, 2, v226
	v_mul_lo_u16 v125, v125, 37
	s_delay_alu instid0(VALU_DEP_3) | instskip(NEXT) | instid1(VALU_DEP_3)
	v_and_b32_e32 v106, 63, v106
	v_and_b32_e32 v107, 0xffff, v107
	s_delay_alu instid0(VALU_DEP_3) | instskip(NEXT) | instid1(VALU_DEP_3)
	v_lshrrev_b16 v220, 8, v125
	v_mul_lo_u16 v106, v106, 37
	s_delay_alu instid0(VALU_DEP_3) | instskip(NEXT) | instid1(VALU_DEP_2)
	v_mul_u32_u24_e32 v107, 0x4925, v107
	v_lshrrev_b16 v221, 8, v106
	s_delay_alu instid0(VALU_DEP_2) | instskip(SKIP_1) | instid1(VALU_DEP_3)
	v_lshrrev_b32_e32 v222, 17, v107
	v_mul_lo_u16 v106, v220, 28
	v_mul_lo_u16 v107, v221, 28
	s_delay_alu instid0(VALU_DEP_3) | instskip(NEXT) | instid1(VALU_DEP_3)
	v_mul_lo_u16 v125, v222, 28
	v_sub_nc_u16 v106, v227, v106
	s_delay_alu instid0(VALU_DEP_3) | instskip(NEXT) | instid1(VALU_DEP_3)
	v_sub_nc_u16 v107, v225, v107
	v_sub_nc_u16 v125, v226, v125
	s_delay_alu instid0(VALU_DEP_3) | instskip(SKIP_1) | instid1(VALU_DEP_4)
	v_and_b32_e32 v226, 0xff, v106
	v_and_b32_e32 v225, 0xffff, v124
	;; [unrolled: 1-line block ×3, first 2 shown]
	s_delay_alu instid0(VALU_DEP_4) | instskip(NEXT) | instid1(VALU_DEP_3)
	v_and_b32_e32 v228, 0xffff, v125
	v_lshlrev_b32_e32 v245, 4, v225
	s_delay_alu instid0(VALU_DEP_2) | instskip(SKIP_4) | instid1(VALU_DEP_1)
	v_lshlrev_b32_e32 v106, 4, v228
	s_wait_loadcnt_dscnt 0x214
	v_mul_f64_e32 v[2:3], v[80:81], v[110:111]
	s_wait_loadcnt 0x0
	v_lshrrev_b16 v126, 2, v128
	v_and_b32_e32 v126, 0xffff, v126
	s_delay_alu instid0(VALU_DEP_1) | instskip(NEXT) | instid1(VALU_DEP_1)
	v_mul_u32_u24_e32 v126, 0x4925, v126
	v_lshrrev_b32_e32 v223, 17, v126
	s_delay_alu instid0(VALU_DEP_1) | instskip(NEXT) | instid1(VALU_DEP_1)
	v_mul_lo_u16 v126, v223, 28
	v_sub_nc_u16 v126, v128, v126
	s_delay_alu instid0(VALU_DEP_1) | instskip(NEXT) | instid1(VALU_DEP_1)
	v_and_b32_e32 v230, 0xffff, v126
	v_lshlrev_b32_e32 v107, 4, v230
	v_fma_f64 v[2:3], v[36:37], v[108:109], v[2:3]
	s_delay_alu instid0(VALU_DEP_1) | instskip(NEXT) | instid1(VALU_DEP_1)
	v_add_f64_e64 v[2:3], v[104:105], -v[2:3]
	v_fma_f64 v[6:7], v[104:105], 2.0, -v[2:3]
	v_lshlrev_b32_e32 v104, 4, v226
	v_lshlrev_b32_e32 v105, 4, v227
	s_clause 0xf
	global_load_b128 v[116:119], v104, s[8:9] offset:384
	global_load_b128 v[120:123], v105, s[8:9] offset:384
	;; [unrolled: 1-line block ×16, first 2 shown]
	global_wb scope:SCOPE_SE
	s_wait_storecnt 0x0
	s_wait_loadcnt_dscnt 0x0
	s_barrier_signal -1
	s_barrier_wait -1
	global_inv scope:SCOPE_SE
	ds_store_2addr_b64 v239, v[6:7], v[2:3] offset1:28
	v_and_b32_e32 v2, 0xffff, v218
	v_lshlrev_b32_e32 v3, 3, v219
	s_delay_alu instid0(VALU_DEP_2) | instskip(NEXT) | instid1(VALU_DEP_1)
	v_mul_u32_u24_e32 v2, 0x1c0, v2
	v_add3_u32 v245, 0, v2, v3
	v_mul_f64_e32 v[2:3], v[82:83], v[114:115]
	s_delay_alu instid0(VALU_DEP_1) | instskip(NEXT) | instid1(VALU_DEP_1)
	v_fma_f64 v[2:3], v[38:39], v[112:113], v[2:3]
	v_add_f64_e64 v[2:3], v[194:195], -v[2:3]
	s_delay_alu instid0(VALU_DEP_1) | instskip(SKIP_3) | instid1(VALU_DEP_2)
	v_fma_f64 v[6:7], v[194:195], 2.0, -v[2:3]
	ds_store_2addr_b64 v245, v[6:7], v[2:3] offset1:28
	v_and_b32_e32 v2, 0xffff, v220
	v_lshlrev_b32_e32 v3, 3, v226
	v_mul_u32_u24_e32 v2, 0x1c0, v2
	s_delay_alu instid0(VALU_DEP_1) | instskip(SKIP_1) | instid1(VALU_DEP_1)
	v_add3_u32 v194, 0, v2, v3
	v_mul_f64_e32 v[2:3], v[84:85], v[118:119]
	v_fma_f64 v[2:3], v[32:33], v[116:117], v[2:3]
	s_delay_alu instid0(VALU_DEP_1) | instskip(NEXT) | instid1(VALU_DEP_1)
	v_add_f64_e64 v[2:3], v[192:193], -v[2:3]
	v_fma_f64 v[6:7], v[192:193], 2.0, -v[2:3]
	ds_store_2addr_b64 v194, v[6:7], v[2:3] offset1:28
	v_and_b32_e32 v2, 0xffff, v221
	v_lshlrev_b32_e32 v3, 3, v227
	s_delay_alu instid0(VALU_DEP_2) | instskip(NEXT) | instid1(VALU_DEP_1)
	v_mul_u32_u24_e32 v2, 0x1c0, v2
	v_add3_u32 v193, 0, v2, v3
	v_mul_f64_e32 v[2:3], v[86:87], v[122:123]
	s_delay_alu instid0(VALU_DEP_1) | instskip(NEXT) | instid1(VALU_DEP_1)
	v_fma_f64 v[2:3], v[34:35], v[120:121], v[2:3]
	v_add_f64_e64 v[2:3], v[190:191], -v[2:3]
	s_delay_alu instid0(VALU_DEP_1) | instskip(SKIP_3) | instid1(VALU_DEP_1)
	v_fma_f64 v[6:7], v[190:191], 2.0, -v[2:3]
	ds_store_2addr_b64 v193, v[6:7], v[2:3] offset1:28
	v_mul_u32_u24_e32 v2, 0x1c0, v222
	v_lshlrev_b32_e32 v3, 3, v228
	v_add3_u32 v195, 0, v2, v3
	v_mul_f64_e32 v[2:3], v[76:77], v[126:127]
	s_delay_alu instid0(VALU_DEP_1) | instskip(NEXT) | instid1(VALU_DEP_1)
	v_fma_f64 v[2:3], v[24:25], v[124:125], v[2:3]
	v_add_f64_e64 v[2:3], v[188:189], -v[2:3]
	s_delay_alu instid0(VALU_DEP_1) | instskip(SKIP_3) | instid1(VALU_DEP_1)
	v_fma_f64 v[6:7], v[188:189], 2.0, -v[2:3]
	ds_store_2addr_b64 v195, v[6:7], v[2:3] offset1:28
	v_mul_u32_u24_e32 v2, 0x1c0, v223
	v_lshlrev_b32_e32 v3, 3, v230
	v_add3_u32 v246, 0, v2, v3
	v_mul_f64_e32 v[2:3], v[78:79], v[130:131]
	s_delay_alu instid0(VALU_DEP_1) | instskip(NEXT) | instid1(VALU_DEP_1)
	v_fma_f64 v[2:3], v[26:27], v[128:129], v[2:3]
	v_add_f64_e64 v[2:3], v[4:5], -v[2:3]
	s_delay_alu instid0(VALU_DEP_1) | instskip(SKIP_3) | instid1(VALU_DEP_1)
	v_fma_f64 v[6:7], v[4:5], 2.0, -v[2:3]
	ds_store_2addr_b64 v246, v[6:7], v[2:3] offset1:28
	v_mul_u32_u24_e32 v2, 0x1c0, v224
	v_lshlrev_b32_e32 v3, 3, v233
	v_add3_u32 v247, 0, v2, v3
	v_mul_f64_e32 v[2:3], v[72:73], v[134:135]
	s_delay_alu instid0(VALU_DEP_1) | instskip(NEXT) | instid1(VALU_DEP_1)
	v_fma_f64 v[2:3], v[12:13], v[132:133], v[2:3]
	v_add_f64_e64 v[2:3], v[184:185], -v[2:3]
	s_delay_alu instid0(VALU_DEP_1) | instskip(SKIP_3) | instid1(VALU_DEP_1)
	v_fma_f64 v[6:7], v[184:185], 2.0, -v[2:3]
	ds_store_2addr_b64 v247, v[6:7], v[2:3] offset1:28
	v_mul_u32_u24_e32 v2, 0x1c0, v236
	v_lshlrev_b32_e32 v3, 3, v248
	v_add3_u32 v184, 0, v2, v3
	v_mul_f64_e32 v[2:3], v[74:75], v[138:139]
	s_delay_alu instid0(VALU_DEP_1) | instskip(NEXT) | instid1(VALU_DEP_1)
	v_fma_f64 v[2:3], v[14:15], v[136:137], v[2:3]
	v_add_f64_e64 v[2:3], v[182:183], -v[2:3]
	s_delay_alu instid0(VALU_DEP_1) | instskip(SKIP_3) | instid1(VALU_DEP_1)
	v_fma_f64 v[6:7], v[182:183], 2.0, -v[2:3]
	ds_store_2addr_b64 v184, v[6:7], v[2:3] offset1:28
	v_mul_u32_u24_e32 v2, 0x1c0, v238
	v_lshlrev_b32_e32 v3, 3, v249
	v_add3_u32 v182, 0, v2, v3
	v_mul_f64_e32 v[2:3], v[88:89], v[142:143]
	s_delay_alu instid0(VALU_DEP_1) | instskip(NEXT) | instid1(VALU_DEP_1)
	v_fma_f64 v[2:3], v[28:29], v[140:141], v[2:3]
	v_add_f64_e64 v[2:3], v[180:181], -v[2:3]
	s_delay_alu instid0(VALU_DEP_1) | instskip(SKIP_4) | instid1(VALU_DEP_2)
	v_fma_f64 v[6:7], v[180:181], 2.0, -v[2:3]
	ds_store_2addr_b64 v182, v[6:7], v[2:3] offset1:28
	v_mul_u32_u24_e32 v2, 0x1c0, v237
	v_lshlrev_b32_e32 v3, 3, v250
	v_lshl_add_u32 v237, v225, 3, 0
	v_add3_u32 v180, 0, v2, v3
	v_mul_f64_e32 v[2:3], v[90:91], v[146:147]
	s_delay_alu instid0(VALU_DEP_1) | instskip(NEXT) | instid1(VALU_DEP_1)
	v_fma_f64 v[2:3], v[30:31], v[144:145], v[2:3]
	v_add_f64_e64 v[2:3], v[52:53], -v[2:3]
	s_delay_alu instid0(VALU_DEP_1) | instskip(SKIP_2) | instid1(VALU_DEP_1)
	v_fma_f64 v[6:7], v[52:53], 2.0, -v[2:3]
	v_mul_u32_u24_e32 v52, 0x1c0, v234
	v_lshlrev_b32_e32 v53, 3, v251
	v_add3_u32 v181, 0, v52, v53
	ds_store_2addr_b64 v180, v[6:7], v[2:3] offset1:28
	v_mul_f64_e32 v[2:3], v[92:93], v[150:151]
	s_delay_alu instid0(VALU_DEP_1) | instskip(NEXT) | instid1(VALU_DEP_1)
	v_fma_f64 v[2:3], v[16:17], v[148:149], v[2:3]
	v_add_f64_e64 v[2:3], v[54:55], -v[2:3]
	s_delay_alu instid0(VALU_DEP_1) | instskip(SKIP_3) | instid1(VALU_DEP_1)
	v_fma_f64 v[6:7], v[54:55], 2.0, -v[2:3]
	ds_store_2addr_b64 v181, v[6:7], v[2:3] offset1:28
	v_mul_u32_u24_e32 v2, 0x1c0, v235
	v_lshlrev_b32_e32 v3, 3, v252
	v_add3_u32 v183, 0, v2, v3
	v_mul_f64_e32 v[2:3], v[94:95], v[154:155]
	s_delay_alu instid0(VALU_DEP_1) | instskip(NEXT) | instid1(VALU_DEP_1)
	v_fma_f64 v[2:3], v[18:19], v[152:153], v[2:3]
	v_add_f64_e64 v[2:3], v[48:49], -v[2:3]
	s_delay_alu instid0(VALU_DEP_1) | instskip(SKIP_2) | instid1(VALU_DEP_1)
	v_fma_f64 v[6:7], v[48:49], 2.0, -v[2:3]
	v_mul_u32_u24_e32 v48, 0x1c0, v240
	v_lshlrev_b32_e32 v49, 3, v253
	v_add3_u32 v185, 0, v48, v49
	ds_store_2addr_b64 v183, v[6:7], v[2:3] offset1:28
	v_mul_f64_e32 v[2:3], v[96:97], v[158:159]
	s_delay_alu instid0(VALU_DEP_1) | instskip(NEXT) | instid1(VALU_DEP_1)
	v_fma_f64 v[2:3], v[8:9], v[156:157], v[2:3]
	v_add_f64_e64 v[2:3], v[50:51], -v[2:3]
	s_delay_alu instid0(VALU_DEP_1) | instskip(SKIP_3) | instid1(VALU_DEP_1)
	v_fma_f64 v[6:7], v[50:51], 2.0, -v[2:3]
	ds_store_2addr_b64 v185, v[6:7], v[2:3] offset1:28
	v_mul_u32_u24_e32 v2, 0x1c0, v244
	v_lshlrev_b32_e32 v3, 3, v254
	v_add3_u32 v234, 0, v2, v3
	v_mul_f64_e32 v[2:3], v[98:99], v[162:163]
	s_delay_alu instid0(VALU_DEP_1) | instskip(NEXT) | instid1(VALU_DEP_1)
	v_fma_f64 v[2:3], v[10:11], v[160:161], v[2:3]
	v_add_f64_e64 v[2:3], v[44:45], -v[2:3]
	s_delay_alu instid0(VALU_DEP_1) | instskip(SKIP_2) | instid1(VALU_DEP_1)
	v_fma_f64 v[6:7], v[44:45], 2.0, -v[2:3]
	v_mul_u32_u24_e32 v44, 0x1c0, v242
	v_lshlrev_b32_e32 v45, 3, v255
	v_add3_u32 v235, 0, v44, v45
	scratch_load_b64 v[44:45], off, off offset:148 ; 8-byte Folded Reload
	ds_store_2addr_b64 v234, v[6:7], v[2:3] offset1:28
	v_mul_f64_e32 v[2:3], v[100:101], v[166:167]
	s_delay_alu instid0(VALU_DEP_1) | instskip(NEXT) | instid1(VALU_DEP_1)
	v_fma_f64 v[2:3], v[20:21], v[164:165], v[2:3]
	v_add_f64_e64 v[2:3], v[46:47], -v[2:3]
	s_delay_alu instid0(VALU_DEP_1) | instskip(SKIP_3) | instid1(VALU_DEP_1)
	v_fma_f64 v[6:7], v[46:47], 2.0, -v[2:3]
	ds_store_2addr_b64 v235, v[6:7], v[2:3] offset1:28
	v_mul_u32_u24_e32 v2, 0x1c0, v243
	v_lshlrev_b32_e32 v3, 3, v231
	v_add3_u32 v236, 0, v2, v3
	v_mul_f64_e32 v[2:3], v[102:103], v[170:171]
	s_delay_alu instid0(VALU_DEP_1) | instskip(NEXT) | instid1(VALU_DEP_1)
	v_fma_f64 v[2:3], v[22:23], v[168:169], v[2:3]
	v_add_f64_e64 v[2:3], v[40:41], -v[2:3]
	s_delay_alu instid0(VALU_DEP_1) | instskip(SKIP_2) | instid1(VALU_DEP_1)
	v_fma_f64 v[6:7], v[40:41], 2.0, -v[2:3]
	v_mul_u32_u24_e32 v40, 0x1c0, v241
	v_lshlrev_b32_e32 v41, 3, v232
	v_add3_u32 v238, 0, v40, v41
	ds_store_2addr_b64 v236, v[6:7], v[2:3] offset1:28
	v_mul_f64_e32 v[2:3], v[216:217], v[174:175]
	s_wait_loadcnt 0x0
	s_delay_alu instid0(VALU_DEP_1) | instskip(NEXT) | instid1(VALU_DEP_1)
	v_fma_f64 v[2:3], v[44:45], v[172:173], v[2:3]
	v_add_f64_e64 v[2:3], v[42:43], -v[2:3]
	s_delay_alu instid0(VALU_DEP_1)
	v_fma_f64 v[6:7], v[42:43], 2.0, -v[2:3]
	ds_store_2addr_b64 v238, v[6:7], v[2:3] offset1:28
	s_and_saveexec_b32 s1, s0
	s_cbranch_execz .LBB0_25
; %bb.24:
	scratch_load_b128 v[2:5], off, off offset:32 ; 16-byte Folded Reload
	s_wait_loadcnt 0x0
	v_mul_f64_e32 v[2:3], v[4:5], v[106:107]
	scratch_load_b128 v[4:7], off, off offset:100 ; 16-byte Folded Reload
	s_wait_loadcnt 0x0
	v_fma_f64 v[2:3], v[6:7], v[104:105], v[2:3]
	v_add_nc_u32_e32 v6, 0x3800, v237
	s_delay_alu instid0(VALU_DEP_2) | instskip(NEXT) | instid1(VALU_DEP_1)
	v_add_f64_e64 v[2:3], v[0:1], -v[2:3]
	v_fma_f64 v[0:1], v[0:1], 2.0, -v[2:3]
	ds_store_2addr_b64 v6, v[0:1], v[2:3] offset0:112 offset1:140
.LBB0_25:
	s_wait_alu 0xfffe
	s_or_b32 exec_lo, exec_lo, s1
	v_mul_f64_e32 v[0:1], v[36:37], v[110:111]
	v_mul_f64_e32 v[6:7], v[32:33], v[118:119]
	;; [unrolled: 1-line block ×4, first 2 shown]
	global_wb scope:SCOPE_SE
	s_wait_dscnt 0x0
	s_barrier_signal -1
	s_barrier_wait -1
	global_inv scope:SCOPE_SE
	v_mul_f64_e32 v[2:3], v[38:39], v[114:115]
	v_mul_f64_e32 v[24:25], v[24:25], v[126:127]
	;; [unrolled: 1-line block ×13, first 2 shown]
	v_add_nc_u32_e32 v221, 0x1000, v229
	v_add_nc_u32_e32 v189, 0x1800, v229
	v_add_nc_u32_e32 v188, 0x2000, v229
	v_add_nc_u32_e32 v190, 0x2800, v229
	v_add_nc_u32_e32 v191, 0x3000, v229
	v_add_nc_u32_e32 v187, 0x800, v229
	v_add_nc_u32_e32 v192, 0x3800, v229
	v_fma_f64 v[0:1], v[80:81], v[108:109], -v[0:1]
	v_fma_f64 v[6:7], v[84:85], v[116:117], -v[6:7]
	;; [unrolled: 1-line block ×4, first 2 shown]
	s_clause 0x1
	scratch_load_b32 v216, off, off offset:84
	scratch_load_b32 v217, off, off offset:88
	v_fma_f64 v[2:3], v[82:83], v[112:113], -v[2:3]
	v_fma_f64 v[24:25], v[76:77], v[124:125], -v[24:25]
	;; [unrolled: 1-line block ×13, first 2 shown]
	ds_load_b64 v[76:77], v229
	v_add_nc_u32_e32 v82, 0x2400, v229
	v_add_nc_u32_e32 v90, 0x1c00, v229
	v_add_f64_e64 v[0:1], v[198:199], -v[0:1]
	v_add_f64_e64 v[6:7], v[200:201], -v[6:7]
	;; [unrolled: 1-line block ×17, first 2 shown]
	v_fma_f64 v[116:117], v[198:199], 2.0, -v[0:1]
	scratch_load_b32 v199, off, off offset:92 ; 4-byte Folded Reload
	v_fma_f64 v[120:121], v[200:201], 2.0, -v[6:7]
	s_clause 0x1
	scratch_load_b32 v200, off, off offset:16
	scratch_load_b32 v198, off, off offset:80
	v_fma_f64 v[122:123], v[206:207], 2.0, -v[83:84]
	v_fma_f64 v[144:145], v[70:71], 2.0, -v[4:5]
	;; [unrolled: 1-line block ×15, first 2 shown]
	s_wait_loadcnt 0x4
	ds_load_b64 v[74:75], v216
	s_wait_loadcnt 0x3
	ds_load_b64 v[72:73], v217
	;; [unrolled: 2-line block ×5, first 2 shown]
	ds_load_b64 v[78:79], v229 offset:15232
	ds_load_2addr_b64 v[60:63], v221 offset0:48 offset1:104
	ds_load_2addr_b64 v[24:27], v189 offset0:16 offset1:72
	;; [unrolled: 1-line block ×10, first 2 shown]
	ds_load_2addr_b64 v[40:43], v192 offset1:56
	ds_load_2addr_b64 v[36:39], v187 offset0:192 offset1:248
	ds_load_2addr_b64 v[28:31], v90 offset0:112 offset1:168
	;; [unrolled: 1-line block ×3, first 2 shown]
	global_wb scope:SCOPE_SE
	s_wait_dscnt 0x0
	s_barrier_signal -1
	s_barrier_wait -1
	global_inv scope:SCOPE_SE
	ds_store_2addr_b64 v239, v[116:117], v[0:1] offset1:28
	ds_store_2addr_b64 v245, v[118:119], v[2:3] offset1:28
	;; [unrolled: 1-line block ×17, first 2 shown]
	s_and_saveexec_b32 s1, s0
	s_cbranch_execz .LBB0_27
; %bb.26:
	scratch_load_b128 v[0:3], off, off offset:100 th:TH_LOAD_LU ; 16-byte Folded Reload
	s_wait_loadcnt 0x0
	v_mul_f64_e32 v[0:1], v[2:3], v[106:107]
	scratch_load_b128 v[2:5], off, off offset:32 th:TH_LOAD_LU ; 16-byte Folded Reload
	s_wait_loadcnt 0x0
	v_fma_f64 v[0:1], v[4:5], v[104:105], -v[0:1]
	v_add_nc_u32_e32 v4, 0x3800, v237
	s_delay_alu instid0(VALU_DEP_2) | instskip(NEXT) | instid1(VALU_DEP_1)
	v_add_f64_e64 v[0:1], v[196:197], -v[0:1]
	v_fma_f64 v[2:3], v[196:197], 2.0, -v[0:1]
	ds_store_2addr_b64 v4, v[2:3], v[0:1] offset0:112 offset1:140
.LBB0_27:
	s_wait_alu 0xfffe
	s_or_b32 exec_lo, exec_lo, s1
	v_mov_b32_e32 v255, v186
	global_wb scope:SCOPE_SE
	s_wait_dscnt 0x0
	s_barrier_signal -1
	s_barrier_wait -1
	global_inv scope:SCOPE_SE
	v_mul_u32_u24_e32 v0, 6, v255
	ds_load_2addr_b64 v[4:7], v221 offset0:48 offset1:104
	s_mov_b32 s10, 0x37e14327
	s_mov_b32 s18, 0xe976ee23
	;; [unrolled: 1-line block ×3, first 2 shown]
	v_dual_mov_b32 v240, v198 :: v_dual_lshlrev_b32 v83, 4, v0
	s_mov_b32 s19, 0x3fe11646
	s_mov_b32 s0, 0x36b3c0b5
	;; [unrolled: 1-line block ×3, first 2 shown]
	s_clause 0x1
	global_load_b128 v[0:3], v83, s[8:9] offset:848
	global_load_b128 v[64:67], v83, s[8:9] offset:832
	s_mov_b32 s1, 0x3fac98ee
	s_mov_b32 s21, 0xbfebfeb5
	;; [unrolled: 1-line block ×8, first 2 shown]
	s_wait_alu 0xfffe
	s_mov_b32 s22, s14
	s_mov_b32 s25, 0x3fe77f67
	;; [unrolled: 1-line block ×6, first 2 shown]
	v_add_nc_u32_e32 v211, 0x400, v229
	global_load_b128 v[91:94], v83, s[8:9] offset:864
	v_dual_mov_b32 v241, v216 :: v_dual_mov_b32 v242, v217
	v_dual_mov_b32 v243, v199 :: v_dual_mov_b32 v230, v200
	s_wait_loadcnt_dscnt 0x200
	v_mul_f64_e32 v[84:85], v[4:5], v[2:3]
	s_delay_alu instid0(VALU_DEP_1) | instskip(SKIP_2) | instid1(VALU_DEP_2)
	v_fma_f64 v[88:89], v[60:61], v[0:1], v[84:85]
	v_mul_f64_e32 v[84:85], v[6:7], v[2:3]
	v_mul_f64_e32 v[60:61], v[60:61], v[2:3]
	v_fma_f64 v[108:109], v[62:63], v[0:1], v[84:85]
	v_mul_f64_e32 v[62:63], v[62:63], v[2:3]
	s_delay_alu instid0(VALU_DEP_3) | instskip(NEXT) | instid1(VALU_DEP_2)
	v_fma_f64 v[2:3], v[4:5], v[0:1], -v[60:61]
	v_fma_f64 v[124:125], v[6:7], v[0:1], -v[62:63]
	global_load_b128 v[60:63], v83, s[8:9] offset:880
	ds_load_2addr_b64 v[4:7], v188 offset0:96 offset1:152
	s_wait_loadcnt_dscnt 0x0
	v_mul_f64_e32 v[0:1], v[4:5], v[62:63]
	v_mul_f64_e32 v[84:85], v[6:7], v[62:63]
	s_delay_alu instid0(VALU_DEP_2) | instskip(NEXT) | instid1(VALU_DEP_2)
	v_fma_f64 v[0:1], v[56:57], v[60:61], v[0:1]
	v_fma_f64 v[122:123], v[58:59], v[60:61], v[84:85]
	v_mul_f64_e32 v[56:57], v[56:57], v[62:63]
	v_mul_f64_e32 v[58:59], v[58:59], v[62:63]
	s_delay_alu instid0(VALU_DEP_2) | instskip(NEXT) | instid1(VALU_DEP_2)
	v_fma_f64 v[4:5], v[4:5], v[60:61], -v[56:57]
	v_fma_f64 v[132:133], v[6:7], v[60:61], -v[58:59]
	s_clause 0x1
	global_load_b128 v[56:59], v83, s[8:9] offset:912
	global_load_b128 v[95:98], v83, s[8:9] offset:896
	s_clause 0x1
	scratch_load_b32 v186, off, off offset:48
	scratch_load_b32 v222, off, off offset:64
	ds_load_2addr_b64 v[60:63], v191 offset0:144 offset1:200
	s_wait_loadcnt_dscnt 0x300
	v_mul_f64_e32 v[83:84], v[62:63], v[58:59]
	v_mul_f64_e32 v[6:7], v[60:61], v[58:59]
	s_delay_alu instid0(VALU_DEP_2) | instskip(SKIP_1) | instid1(VALU_DEP_3)
	v_fma_f64 v[130:131], v[54:55], v[56:57], v[83:84]
	v_mul_f64_e32 v[54:55], v[54:55], v[58:59]
	v_fma_f64 v[6:7], v[52:53], v[56:57], v[6:7]
	v_mul_f64_e32 v[52:53], v[52:53], v[58:59]
	s_delay_alu instid0(VALU_DEP_3) | instskip(SKIP_2) | instid1(VALU_DEP_3)
	v_fma_f64 v[138:139], v[62:63], v[56:57], -v[54:55]
	s_wait_loadcnt 0x1
	v_lshrrev_b16 v54, 3, v186
	v_fma_f64 v[52:53], v[60:61], v[56:57], -v[52:53]
	ds_load_2addr_b64 v[59:62], v221 offset0:160 offset1:216
	v_and_b32_e32 v54, 31, v54
	s_delay_alu instid0(VALU_DEP_1) | instskip(NEXT) | instid1(VALU_DEP_1)
	v_mul_lo_u16 v54, v54, 37
	v_lshrrev_b16 v54, 8, v54
	s_delay_alu instid0(VALU_DEP_1) | instskip(NEXT) | instid1(VALU_DEP_1)
	v_mul_lo_u16 v54, v54, 56
	v_sub_nc_u16 v54, v186, v54
	s_delay_alu instid0(VALU_DEP_1) | instskip(NEXT) | instid1(VALU_DEP_1)
	v_and_b32_e32 v54, 0xff, v54
	v_mul_u32_u24_e32 v55, 6, v54
	v_lshl_add_u32 v212, v54, 3, 0
	s_delay_alu instid0(VALU_DEP_2) | instskip(NEXT) | instid1(VALU_DEP_2)
	v_lshlrev_b32_e32 v103, 4, v55
	v_add_nc_u32_e32 v213, 0x1800, v212
	v_add_nc_u32_e32 v214, 0x1c00, v212
	s_clause 0x1
	global_load_b128 v[55:58], v103, s[8:9] offset:848
	global_load_b128 v[180:183], v103, s[8:9] offset:832
	s_wait_loadcnt_dscnt 0x100
	v_mul_f64_e32 v[83:84], v[59:60], v[57:58]
	s_delay_alu instid0(VALU_DEP_1) | instskip(SKIP_1) | instid1(VALU_DEP_1)
	v_fma_f64 v[106:107], v[48:49], v[55:56], v[83:84]
	v_mul_f64_e32 v[48:49], v[48:49], v[57:58]
	v_fma_f64 v[114:115], v[59:60], v[55:56], -v[48:49]
	v_lshrrev_b16 v48, 3, v222
	s_delay_alu instid0(VALU_DEP_1) | instskip(NEXT) | instid1(VALU_DEP_1)
	v_and_b32_e32 v48, 31, v48
	v_mul_lo_u16 v48, v48, 37
	s_delay_alu instid0(VALU_DEP_1) | instskip(NEXT) | instid1(VALU_DEP_1)
	v_lshrrev_b16 v48, 8, v48
	v_mul_lo_u16 v48, v48, 56
	s_delay_alu instid0(VALU_DEP_1) | instskip(NEXT) | instid1(VALU_DEP_1)
	v_sub_nc_u16 v48, v222, v48
	v_and_b32_e32 v48, 0xff, v48
	s_delay_alu instid0(VALU_DEP_1) | instskip(SKIP_1) | instid1(VALU_DEP_2)
	v_mul_u32_u24_e32 v49, 6, v48
	v_lshl_add_u32 v215, v48, 3, 0
	v_lshlrev_b32_e32 v104, 4, v49
	s_clause 0x1
	global_load_b128 v[83:86], v104, s[8:9] offset:848
	global_load_b128 v[99:102], v104, s[8:9] offset:832
	s_wait_loadcnt 0x1
	v_mul_f64_e32 v[55:56], v[61:62], v[85:86]
	s_delay_alu instid0(VALU_DEP_1) | instskip(SKIP_1) | instid1(VALU_DEP_1)
	v_fma_f64 v[56:57], v[50:51], v[83:84], v[55:56]
	v_mul_f64_e32 v[49:50], v[50:51], v[85:86]
	v_fma_f64 v[58:59], v[61:62], v[83:84], -v[49:50]
	ds_load_2addr_b64 v[60:63], v82 offset0:80 offset1:136
	s_clause 0x1
	global_load_b128 v[82:85], v103, s[8:9] offset:880
	global_load_b128 v[146:149], v103, s[8:9] offset:864
	s_wait_loadcnt_dscnt 0x100
	v_mul_f64_e32 v[49:50], v[60:61], v[84:85]
	s_delay_alu instid0(VALU_DEP_1)
	v_fma_f64 v[126:127], v[44:45], v[82:83], v[49:50]
	v_mul_f64_e32 v[44:45], v[44:45], v[84:85]
	s_clause 0x1
	global_load_b128 v[84:87], v104, s[8:9] offset:880
	global_load_b128 v[156:159], v104, s[8:9] offset:864
	v_fma_f64 v[134:135], v[60:61], v[82:83], -v[44:45]
	s_wait_loadcnt 0x1
	v_mul_f64_e32 v[44:45], v[62:63], v[86:87]
	s_delay_alu instid0(VALU_DEP_1) | instskip(SKIP_1) | instid1(VALU_DEP_1)
	v_fma_f64 v[82:83], v[46:47], v[84:85], v[44:45]
	v_mul_f64_e32 v[44:45], v[46:47], v[86:87]
	v_fma_f64 v[84:85], v[62:63], v[84:85], -v[44:45]
	s_clause 0x1
	global_load_b128 v[44:47], v103, s[8:9] offset:912
	global_load_b128 v[168:171], v103, s[8:9] offset:896
	ds_load_2addr_b64 v[60:63], v192 offset1:56
	s_wait_loadcnt_dscnt 0x100
	v_mul_f64_e32 v[49:50], v[60:61], v[46:47]
	s_delay_alu instid0(VALU_DEP_1) | instskip(SKIP_1) | instid1(VALU_DEP_1)
	v_fma_f64 v[140:141], v[40:41], v[44:45], v[49:50]
	v_mul_f64_e32 v[40:41], v[40:41], v[46:47]
	v_fma_f64 v[144:145], v[60:61], v[44:45], -v[40:41]
	s_clause 0x1
	global_load_b128 v[44:47], v104, s[8:9] offset:912
	global_load_b128 v[193:196], v104, s[8:9] offset:896
	scratch_load_b32 v223, off, off offset:72 ; 4-byte Folded Reload
	s_wait_loadcnt 0x2
	v_mul_f64_e32 v[40:41], v[62:63], v[46:47]
	s_delay_alu instid0(VALU_DEP_1) | instskip(SKIP_1) | instid1(VALU_DEP_1)
	v_fma_f64 v[104:105], v[42:43], v[44:45], v[40:41]
	v_mul_f64_e32 v[40:41], v[42:43], v[46:47]
	v_fma_f64 v[112:113], v[62:63], v[44:45], -v[40:41]
	ds_load_2addr_b64 v[40:43], v187 offset0:192 offset1:248
	s_wait_dscnt 0x0
	v_mul_f64_e32 v[44:45], v[40:41], v[101:102]
	s_delay_alu instid0(VALU_DEP_1) | instskip(SKIP_1) | instid1(VALU_DEP_1)
	v_fma_f64 v[116:117], v[36:37], v[99:100], v[44:45]
	v_mul_f64_e32 v[36:37], v[36:37], v[101:102]
	v_fma_f64 v[120:121], v[40:41], v[99:100], -v[36:37]
	s_wait_loadcnt 0x0
	v_lshrrev_b16 v36, 3, v223
	s_delay_alu instid0(VALU_DEP_1) | instskip(NEXT) | instid1(VALU_DEP_1)
	v_and_b32_e32 v36, 0xffff, v36
	v_mul_u32_u24_e32 v36, 0x2493, v36
	s_delay_alu instid0(VALU_DEP_1) | instskip(NEXT) | instid1(VALU_DEP_1)
	v_lshrrev_b32_e32 v36, 16, v36
	v_mul_lo_u16 v36, v36, 56
	s_delay_alu instid0(VALU_DEP_1) | instskip(NEXT) | instid1(VALU_DEP_1)
	v_sub_nc_u16 v36, v223, v36
	v_and_b32_e32 v36, 0xffff, v36
	s_delay_alu instid0(VALU_DEP_1) | instskip(SKIP_1) | instid1(VALU_DEP_2)
	v_mul_u32_u24_e32 v37, 6, v36
	v_lshl_add_u32 v218, v36, 3, 0
	v_lshlrev_b32_e32 v49, 4, v37
	s_clause 0x1
	global_load_b128 v[44:47], v49, s[8:9] offset:832
	global_load_b128 v[99:102], v49, s[8:9] offset:848
	v_add_nc_u32_e32 v220, 0x3800, v218
	v_add_nc_u32_e32 v219, 0x3000, v218
	s_wait_loadcnt 0x1
	v_mul_f64_e32 v[40:41], v[42:43], v[46:47]
	s_delay_alu instid0(VALU_DEP_1) | instskip(SKIP_1) | instid1(VALU_DEP_1)
	v_fma_f64 v[60:61], v[38:39], v[44:45], v[40:41]
	v_mul_f64_e32 v[37:38], v[38:39], v[46:47]
	v_fma_f64 v[62:63], v[42:43], v[44:45], -v[37:38]
	ds_load_2addr_b64 v[37:40], v189 offset0:128 offset1:184
	s_wait_dscnt 0x0
	v_mul_f64_e32 v[41:42], v[39:40], v[148:149]
	s_delay_alu instid0(VALU_DEP_1) | instskip(SKIP_1) | instid1(VALU_DEP_1)
	v_fma_f64 v[152:153], v[34:35], v[146:147], v[41:42]
	v_mul_f64_e32 v[34:35], v[34:35], v[148:149]
	v_fma_f64 v[154:155], v[39:40], v[146:147], -v[34:35]
	v_mul_f64_e32 v[34:35], v[37:38], v[93:94]
	s_delay_alu instid0(VALU_DEP_1) | instskip(SKIP_1) | instid1(VALU_DEP_1)
	v_fma_f64 v[164:165], v[32:33], v[91:92], v[34:35]
	v_mul_f64_e32 v[32:33], v[32:33], v[93:94]
	v_fma_f64 v[166:167], v[37:38], v[91:92], -v[32:33]
	ds_load_2addr_b64 v[37:40], v189 offset0:16 offset1:72
	s_wait_dscnt 0x0
	v_mul_f64_e32 v[32:33], v[39:40], v[93:94]
	s_wait_loadcnt 0x0
	v_mul_f64_e32 v[34:35], v[37:38], v[101:102]
	s_delay_alu instid0(VALU_DEP_2) | instskip(SKIP_1) | instid1(VALU_DEP_3)
	v_fma_f64 v[32:33], v[26:27], v[91:92], v[32:33]
	v_mul_f64_e32 v[26:27], v[26:27], v[93:94]
	v_fma_f64 v[86:87], v[24:25], v[99:100], v[34:35]
	v_mul_f64_e32 v[24:25], v[24:25], v[101:102]
	s_delay_alu instid0(VALU_DEP_3) | instskip(NEXT) | instid1(VALU_DEP_2)
	v_fma_f64 v[26:27], v[39:40], v[91:92], -v[26:27]
	v_fma_f64 v[102:103], v[37:38], v[99:100], -v[24:25]
	ds_load_2addr_b64 v[37:40], v90 offset0:112 offset1:168
	s_clause 0x1
	global_load_b128 v[41:44], v49, s[8:9] offset:864
	global_load_b128 v[90:93], v49, s[8:9] offset:880
	s_wait_dscnt 0x0
	v_mul_f64_e32 v[24:25], v[37:38], v[158:159]
	s_delay_alu instid0(VALU_DEP_1) | instskip(SKIP_1) | instid1(VALU_DEP_1)
	v_fma_f64 v[142:143], v[28:29], v[156:157], v[24:25]
	v_mul_f64_e32 v[24:25], v[28:29], v[158:159]
	v_fma_f64 v[146:147], v[37:38], v[156:157], -v[24:25]
	s_wait_loadcnt 0x1
	v_mul_f64_e32 v[24:25], v[39:40], v[43:44]
	s_delay_alu instid0(VALU_DEP_1)
	v_fma_f64 v[110:111], v[30:31], v[41:42], v[24:25]
	v_mul_f64_e32 v[24:25], v[30:31], v[43:44]
	ds_load_2addr_b64 v[28:31], v190 offset0:176 offset1:232
	v_fma_f64 v[118:119], v[39:40], v[41:42], -v[24:25]
	s_wait_dscnt 0x0
	v_mul_f64_e32 v[24:25], v[30:31], v[170:171]
	s_delay_alu instid0(VALU_DEP_1) | instskip(SKIP_1) | instid1(VALU_DEP_1)
	v_fma_f64 v[160:161], v[22:23], v[168:169], v[24:25]
	v_mul_f64_e32 v[22:23], v[22:23], v[170:171]
	v_fma_f64 v[162:163], v[30:31], v[168:169], -v[22:23]
	v_mul_f64_e32 v[22:23], v[28:29], v[97:98]
	s_delay_alu instid0(VALU_DEP_1)
	v_fma_f64 v[170:171], v[20:21], v[95:96], v[22:23]
	v_mul_f64_e32 v[20:21], v[20:21], v[97:98]
	ds_load_2addr_b64 v[22:25], v190 offset0:64 offset1:120
	v_fma_f64 v[174:175], v[28:29], v[95:96], -v[20:21]
	s_wait_dscnt 0x0
	v_mul_f64_e32 v[20:21], v[24:25], v[97:98]
	s_delay_alu instid0(VALU_DEP_1) | instskip(SKIP_1) | instid1(VALU_DEP_1)
	v_fma_f64 v[20:21], v[18:19], v[95:96], v[20:21]
	v_mul_f64_e32 v[18:19], v[18:19], v[97:98]
	v_fma_f64 v[18:19], v[24:25], v[95:96], -v[18:19]
	s_wait_loadcnt 0x0
	v_mul_f64_e32 v[24:25], v[22:23], v[92:93]
	s_delay_alu instid0(VALU_DEP_1) | instskip(SKIP_1) | instid1(VALU_DEP_1)
	v_fma_f64 v[128:129], v[16:17], v[90:91], v[24:25]
	v_mul_f64_e32 v[16:17], v[16:17], v[92:93]
	v_fma_f64 v[136:137], v[22:23], v[90:91], -v[16:17]
	ds_load_2addr_b64 v[22:25], v191 offset0:32 offset1:88
	s_clause 0x1
	global_load_b128 v[28:31], v49, s[8:9] offset:896
	global_load_b128 v[37:40], v49, s[8:9] offset:912
	s_wait_dscnt 0x0
	v_mul_f64_e32 v[16:17], v[22:23], v[195:196]
	s_delay_alu instid0(VALU_DEP_1) | instskip(SKIP_3) | instid1(VALU_DEP_3)
	v_fma_f64 v[156:157], v[12:13], v[193:194], v[16:17]
	v_mul_f64_e32 v[12:13], v[12:13], v[195:196]
	v_add_nc_u32_e32 v196, 0x1400, v229
	v_add_nc_u32_e32 v195, 0x2c00, v229
	v_fma_f64 v[158:159], v[22:23], v[193:194], -v[12:13]
	v_add_f64_e32 v[22:23], v[32:33], v[0:1]
	v_add_nc_u32_e32 v193, 0xc00, v229
	v_add_f64_e64 v[0:1], v[0:1], -v[32:33]
	v_add_nc_u32_e32 v194, 0x3400, v229
	s_wait_loadcnt 0x1
	v_mul_f64_e32 v[12:13], v[24:25], v[30:31]
	s_delay_alu instid0(VALU_DEP_1) | instskip(SKIP_3) | instid1(VALU_DEP_3)
	v_fma_f64 v[148:149], v[14:15], v[28:29], v[12:13]
	v_mul_f64_e32 v[12:13], v[14:15], v[30:31]
	v_add_f64_e64 v[30:31], v[4:5], -v[26:27]
	v_add_f64_e32 v[4:5], v[26:27], v[4:5]
	v_fma_f64 v[150:151], v[24:25], v[28:29], -v[12:13]
	ds_load_2addr_b64 v[12:15], v187 offset0:80 offset1:136
	v_add_f64_e64 v[28:29], v[2:3], -v[18:19]
	v_add_f64_e32 v[2:3], v[2:3], v[18:19]
	s_wait_dscnt 0x0
	v_mul_f64_e32 v[16:17], v[14:15], v[182:183]
	s_delay_alu instid0(VALU_DEP_1) | instskip(SKIP_1) | instid1(VALU_DEP_1)
	v_fma_f64 v[168:169], v[10:11], v[180:181], v[16:17]
	v_mul_f64_e32 v[10:11], v[10:11], v[182:183]
	v_fma_f64 v[172:173], v[14:15], v[180:181], -v[10:11]
	v_mul_f64_e32 v[10:11], v[12:13], v[66:67]
	s_delay_alu instid0(VALU_DEP_1) | instskip(SKIP_1) | instid1(VALU_DEP_1)
	v_fma_f64 v[180:181], v[8:9], v[64:65], v[10:11]
	v_mul_f64_e32 v[8:9], v[8:9], v[66:67]
	v_fma_f64 v[182:183], v[12:13], v[64:65], -v[8:9]
	ds_load_b64 v[8:9], v200
	ds_load_b64 v[184:185], v199
	v_mul_f64_e32 v[12:13], v[80:81], v[66:67]
	s_wait_dscnt 0x1
	v_mul_f64_e32 v[10:11], v[8:9], v[66:67]
	s_delay_alu instid0(VALU_DEP_2) | instskip(NEXT) | instid1(VALU_DEP_2)
	v_fma_f64 v[8:9], v[8:9], v[64:65], -v[12:13]
	v_fma_f64 v[10:11], v[80:81], v[64:65], v[10:11]
	ds_load_b64 v[12:13], v229 offset:15232
	ds_load_b64 v[80:81], v198
	ds_load_b64 v[14:15], v229
	s_wait_loadcnt_dscnt 0x2
	v_mul_f64_e32 v[16:17], v[12:13], v[39:40]
	v_add_f64_e64 v[34:35], v[8:9], -v[52:53]
	v_add_f64_e32 v[8:9], v[8:9], v[52:53]
	s_delay_alu instid0(VALU_DEP_3) | instskip(SKIP_2) | instid1(VALU_DEP_2)
	v_fma_f64 v[64:65], v[78:79], v[37:38], v[16:17]
	v_mul_f64_e32 v[16:17], v[78:79], v[39:40]
	v_add_f64_e32 v[39:40], v[30:31], v[28:29]
	v_fma_f64 v[66:67], v[12:13], v[37:38], -v[16:17]
	v_add_f64_e32 v[12:13], v[10:11], v[6:7]
	v_add_f64_e32 v[16:17], v[88:89], v[20:21]
	v_add_f64_e64 v[37:38], v[30:31], -v[28:29]
	v_add_f64_e64 v[28:29], v[28:29], -v[34:35]
	;; [unrolled: 1-line block ×3, first 2 shown]
	v_add_f64_e32 v[39:40], v[39:40], v[34:35]
	v_add_f64_e64 v[34:35], v[182:183], -v[138:139]
	v_add_f64_e64 v[6:7], v[10:11], -v[6:7]
	;; [unrolled: 1-line block ×4, first 2 shown]
	v_add_f64_e32 v[24:25], v[16:17], v[12:13]
	v_mul_f64_e32 v[37:38], s[18:19], v[37:38]
	v_add_f64_e64 v[12:13], v[16:17], -v[12:13]
	v_add_f64_e32 v[20:21], v[0:1], v[10:11]
	v_mul_f64_e32 v[43:44], s[10:11], v[43:44]
	v_add_f64_e32 v[24:25], v[22:23], v[24:25]
	v_add_f64_e64 v[22:23], v[22:23], -v[16:17]
	v_fma_f64 v[16:17], v[28:29], s[20:21], -v[37:38]
	v_mul_f64_e32 v[28:29], s[20:21], v[28:29]
	v_fma_f64 v[45:46], v[30:31], s[14:15], v[37:38]
	v_add_f64_e32 v[41:42], v[76:77], v[24:25]
	v_fma_f64 v[49:50], v[22:23], s[0:1], v[43:44]
	v_mul_f64_e32 v[22:23], s[0:1], v[22:23]
	s_wait_alu 0xfffe
	v_fma_f64 v[28:29], v[30:31], s[22:23], -v[28:29]
	v_fma_f64 v[30:31], v[12:13], s[26:27], -v[43:44]
	v_fma_f64 v[16:17], v[39:40], s[4:5], v[16:17]
	ds_load_b64 v[76:77], v217
	ds_load_b64 v[78:79], v216
	global_wb scope:SCOPE_SE
	s_wait_dscnt 0x0
	s_barrier_signal -1
	s_barrier_wait -1
	global_inv scope:SCOPE_SE
	scratch_load_b32 v224, off, off offset:136 th:TH_LOAD_LU ; 4-byte Folded Reload
	v_fma_f64 v[45:46], v[39:40], s[4:5], v[45:46]
	v_add_nc_u32_e32 v217, 0x2800, v215
	v_add_nc_u32_e32 v216, 0x2000, v215
	v_fma_f64 v[24:25], v[24:25], s[12:13], v[41:42]
	v_fma_f64 v[12:13], v[12:13], s[24:25], -v[22:23]
	v_fma_f64 v[22:23], v[39:40], s[4:5], v[28:29]
	s_delay_alu instid0(VALU_DEP_3) | instskip(SKIP_1) | instid1(VALU_DEP_4)
	v_add_f64_e32 v[28:29], v[30:31], v[24:25]
	v_add_f64_e32 v[49:50], v[49:50], v[24:25]
	;; [unrolled: 1-line block ×3, first 2 shown]
	s_delay_alu instid0(VALU_DEP_3) | instskip(NEXT) | instid1(VALU_DEP_3)
	v_add_f64_e32 v[24:25], v[22:23], v[28:29]
	v_add_f64_e32 v[90:91], v[45:46], v[49:50]
	s_delay_alu instid0(VALU_DEP_3)
	v_add_f64_e64 v[30:31], v[12:13], -v[16:17]
	v_add_f64_e32 v[12:13], v[16:17], v[12:13]
	v_add_f64_e64 v[16:17], v[28:29], -v[22:23]
	v_add_f64_e32 v[22:23], v[164:165], v[122:123]
	ds_store_2addr_b64 v229, v[41:42], v[90:91] offset1:56
	ds_store_2addr_b64 v229, v[24:25], v[30:31] offset0:112 offset1:168
	v_add_f64_e64 v[30:31], v[132:133], -v[166:167]
	ds_store_2addr_b64 v211, v[12:13], v[16:17] offset0:96 offset1:152
	v_add_f64_e32 v[12:13], v[180:181], v[130:131]
	v_add_f64_e32 v[16:17], v[108:109], v[170:171]
	s_delay_alu instid0(VALU_DEP_1) | instskip(SKIP_3) | instid1(VALU_DEP_4)
	v_add_f64_e32 v[24:25], v[16:17], v[12:13]
	v_add_f64_e64 v[28:29], v[16:17], -v[12:13]
	v_add_f64_e64 v[12:13], v[12:13], -v[22:23]
	v_add_f64_e64 v[16:17], v[22:23], -v[16:17]
	v_add_f64_e32 v[22:23], v[22:23], v[24:25]
	v_add_f64_e64 v[24:25], v[124:125], -v[174:175]
	s_delay_alu instid0(VALU_DEP_4) | instskip(NEXT) | instid1(VALU_DEP_3)
	v_mul_f64_e32 v[12:13], s[10:11], v[12:13]
	v_add_f64_e32 v[41:42], v[70:71], v[22:23]
	s_delay_alu instid0(VALU_DEP_3)
	v_add_f64_e32 v[37:38], v[30:31], v[24:25]
	v_add_f64_e64 v[39:40], v[30:31], -v[24:25]
	v_add_f64_e64 v[24:25], v[24:25], -v[34:35]
	;; [unrolled: 1-line block ×3, first 2 shown]
	v_fma_f64 v[22:23], v[22:23], s[12:13], v[41:42]
	v_add_f64_e32 v[34:35], v[37:38], v[34:35]
	v_mul_f64_e32 v[37:38], s[18:19], v[39:40]
	v_mul_f64_e32 v[39:40], s[20:21], v[24:25]
	s_delay_alu instid0(VALU_DEP_2) | instskip(SKIP_1) | instid1(VALU_DEP_3)
	v_fma_f64 v[24:25], v[24:25], s[20:21], -v[37:38]
	v_fma_f64 v[37:38], v[30:31], s[14:15], v[37:38]
	v_fma_f64 v[30:31], v[30:31], s[22:23], -v[39:40]
	v_add_f64_e64 v[39:40], v[49:50], -v[45:46]
	s_delay_alu instid0(VALU_DEP_4) | instskip(NEXT) | instid1(VALU_DEP_3)
	v_fma_f64 v[24:25], v[34:35], s[4:5], v[24:25]
	v_fma_f64 v[30:31], v[34:35], s[4:5], v[30:31]
	ds_store_2addr_b64 v187, v[39:40], v[41:42] offset0:80 offset1:136
	v_mul_f64_e32 v[39:40], s[0:1], v[16:17]
	v_fma_f64 v[16:17], v[16:17], s[0:1], v[12:13]
	v_fma_f64 v[12:13], v[28:29], s[26:27], -v[12:13]
	s_delay_alu instid0(VALU_DEP_3) | instskip(SKIP_1) | instid1(VALU_DEP_4)
	v_fma_f64 v[39:40], v[28:29], s[24:25], -v[39:40]
	v_fma_f64 v[28:29], v[34:35], s[4:5], v[37:38]
	v_add_f64_e32 v[16:17], v[16:17], v[22:23]
	s_delay_alu instid0(VALU_DEP_4) | instskip(NEXT) | instid1(VALU_DEP_4)
	v_add_f64_e32 v[12:13], v[12:13], v[22:23]
	v_add_f64_e32 v[22:23], v[39:40], v[22:23]
	s_delay_alu instid0(VALU_DEP_3) | instskip(NEXT) | instid1(VALU_DEP_2)
	v_add_f64_e32 v[34:35], v[28:29], v[16:17]
	v_add_f64_e64 v[37:38], v[22:23], -v[24:25]
	v_add_f64_e32 v[22:23], v[24:25], v[22:23]
	s_wait_loadcnt 0x0
	ds_store_b64 v224, v[34:35]
	v_add_f64_e32 v[34:35], v[30:31], v[12:13]
	v_add_f64_e64 v[12:13], v[12:13], -v[30:31]
	v_add_f64_e64 v[30:31], v[134:135], -v[154:155]
	ds_store_2addr_b64 v193, v[34:35], v[37:38] offset0:120 offset1:176
	ds_store_2addr_b64 v221, v[22:23], v[12:13] offset0:104 offset1:160
	v_add_f64_e64 v[12:13], v[16:17], -v[28:29]
	v_add_f64_e32 v[16:17], v[106:107], v[160:161]
	v_add_f64_e32 v[22:23], v[152:153], v[126:127]
	v_add_f64_e64 v[28:29], v[114:115], -v[162:163]
	v_add_f64_e64 v[34:35], v[172:173], -v[144:145]
	ds_store_b64 v229, v[12:13] offset:5824
	v_add_f64_e32 v[12:13], v[168:169], v[140:141]
	v_add_f64_e64 v[37:38], v[30:31], -v[28:29]
	v_add_f64_e32 v[39:40], v[30:31], v[28:29]
	v_add_f64_e64 v[28:29], v[28:29], -v[34:35]
	v_add_f64_e64 v[30:31], v[34:35], -v[30:31]
	v_add_f64_e32 v[24:25], v[16:17], v[12:13]
	v_add_f64_e64 v[43:44], v[12:13], -v[22:23]
	v_mul_f64_e32 v[37:38], s[18:19], v[37:38]
	v_add_f64_e64 v[12:13], v[16:17], -v[12:13]
	v_add_f64_e32 v[39:40], v[39:40], v[34:35]
	v_add_f64_e64 v[34:35], v[120:121], -v[112:113]
	v_add_f64_e32 v[24:25], v[22:23], v[24:25]
	v_add_f64_e64 v[22:23], v[22:23], -v[16:17]
	v_mul_f64_e32 v[43:44], s[10:11], v[43:44]
	v_fma_f64 v[16:17], v[28:29], s[20:21], -v[37:38]
	v_mul_f64_e32 v[28:29], s[20:21], v[28:29]
	v_fma_f64 v[45:46], v[30:31], s[14:15], v[37:38]
	v_add_f64_e32 v[41:42], v[74:75], v[24:25]
	v_fma_f64 v[49:50], v[22:23], s[0:1], v[43:44]
	v_mul_f64_e32 v[22:23], s[0:1], v[22:23]
	v_fma_f64 v[28:29], v[30:31], s[22:23], -v[28:29]
	v_fma_f64 v[30:31], v[12:13], s[26:27], -v[43:44]
	v_fma_f64 v[16:17], v[39:40], s[4:5], v[16:17]
	v_fma_f64 v[45:46], v[39:40], s[4:5], v[45:46]
	v_fma_f64 v[24:25], v[24:25], s[12:13], v[41:42]
	v_fma_f64 v[12:13], v[12:13], s[24:25], -v[22:23]
	v_fma_f64 v[22:23], v[39:40], s[4:5], v[28:29]
	s_delay_alu instid0(VALU_DEP_3) | instskip(SKIP_1) | instid1(VALU_DEP_4)
	v_add_f64_e32 v[28:29], v[30:31], v[24:25]
	v_add_f64_e32 v[49:50], v[49:50], v[24:25]
	;; [unrolled: 1-line block ×3, first 2 shown]
	s_delay_alu instid0(VALU_DEP_3) | instskip(NEXT) | instid1(VALU_DEP_3)
	v_add_f64_e32 v[24:25], v[22:23], v[28:29]
	v_add_f64_e32 v[54:55], v[45:46], v[49:50]
	s_delay_alu instid0(VALU_DEP_3)
	v_add_f64_e64 v[30:31], v[12:13], -v[16:17]
	v_add_f64_e32 v[12:13], v[16:17], v[12:13]
	v_add_f64_e64 v[16:17], v[28:29], -v[22:23]
	v_add_f64_e32 v[22:23], v[142:143], v[82:83]
	;; [unrolled: 2-line block ×3, first 2 shown]
	ds_store_2addr_b64 v213, v[41:42], v[54:55] offset0:16 offset1:72
	ds_store_2addr_b64 v213, v[24:25], v[30:31] offset0:128 offset1:184
	v_add_f64_e64 v[30:31], v[84:85], -v[146:147]
	ds_store_2addr_b64 v214, v[12:13], v[16:17] offset0:112 offset1:168
	v_add_f64_e32 v[12:13], v[116:117], v[104:105]
	v_add_f64_e32 v[16:17], v[56:57], v[156:157]
	v_add_f64_e64 v[56:57], v[56:57], -v[156:157]
	v_add_f64_e64 v[37:38], v[30:31], -v[28:29]
	v_add_f64_e32 v[39:40], v[30:31], v[28:29]
	v_add_f64_e64 v[43:44], v[12:13], -v[22:23]
	v_add_f64_e32 v[24:25], v[16:17], v[12:13]
	v_add_f64_e64 v[28:29], v[28:29], -v[34:35]
	v_add_f64_e64 v[30:31], v[34:35], -v[30:31]
	;; [unrolled: 1-line block ×3, first 2 shown]
	v_mul_f64_e32 v[37:38], s[18:19], v[37:38]
	v_add_f64_e32 v[39:40], v[39:40], v[34:35]
	v_mul_f64_e32 v[43:44], s[10:11], v[43:44]
	v_add_f64_e32 v[24:25], v[22:23], v[24:25]
	v_add_f64_e64 v[22:23], v[22:23], -v[16:17]
	v_add_f64_e64 v[34:35], v[62:63], -v[66:67]
	v_fma_f64 v[16:17], v[28:29], s[20:21], -v[37:38]
	v_mul_f64_e32 v[28:29], s[20:21], v[28:29]
	v_fma_f64 v[54:55], v[30:31], s[14:15], v[37:38]
	v_add_f64_e32 v[41:42], v[72:73], v[24:25]
	v_fma_f64 v[70:71], v[22:23], s[0:1], v[43:44]
	v_mul_f64_e32 v[22:23], s[0:1], v[22:23]
	v_fma_f64 v[16:17], v[39:40], s[4:5], v[16:17]
	v_fma_f64 v[28:29], v[30:31], s[22:23], -v[28:29]
	v_fma_f64 v[30:31], v[12:13], s[26:27], -v[43:44]
	v_fma_f64 v[24:25], v[24:25], s[12:13], v[41:42]
	v_fma_f64 v[54:55], v[39:40], s[4:5], v[54:55]
	v_fma_f64 v[12:13], v[12:13], s[24:25], -v[22:23]
	v_fma_f64 v[22:23], v[39:40], s[4:5], v[28:29]
	s_delay_alu instid0(VALU_DEP_4) | instskip(SKIP_1) | instid1(VALU_DEP_4)
	v_add_f64_e32 v[28:29], v[30:31], v[24:25]
	v_add_f64_e32 v[70:71], v[70:71], v[24:25]
	;; [unrolled: 1-line block ×3, first 2 shown]
	s_delay_alu instid0(VALU_DEP_3) | instskip(NEXT) | instid1(VALU_DEP_3)
	v_add_f64_e32 v[24:25], v[22:23], v[28:29]
	v_add_f64_e32 v[47:48], v[54:55], v[70:71]
	s_delay_alu instid0(VALU_DEP_3)
	v_add_f64_e64 v[30:31], v[12:13], -v[16:17]
	v_add_f64_e32 v[12:13], v[16:17], v[12:13]
	v_add_f64_e64 v[16:17], v[28:29], -v[22:23]
	v_add_f64_e32 v[22:23], v[110:111], v[128:129]
	v_add_f64_e64 v[28:29], v[102:103], -v[150:151]
	ds_store_2addr_b64 v216, v[41:42], v[47:48] offset0:152 offset1:208
	ds_store_2addr_b64 v217, v[24:25], v[30:31] offset0:8 offset1:64
	v_add_f64_e64 v[30:31], v[136:137], -v[118:119]
	ds_store_2addr_b64 v217, v[12:13], v[16:17] offset0:120 offset1:176
	v_add_f64_e32 v[12:13], v[60:61], v[64:65]
	v_add_f64_e32 v[16:17], v[86:87], v[148:149]
	v_add_f64_e64 v[60:61], v[60:61], -v[64:65]
	v_add_f64_e32 v[64:65], v[118:119], v[136:137]
	v_add_f64_e64 v[37:38], v[30:31], -v[28:29]
	v_add_f64_e32 v[39:40], v[30:31], v[28:29]
	v_add_f64_e64 v[43:44], v[12:13], -v[22:23]
	v_add_f64_e32 v[24:25], v[16:17], v[12:13]
	v_add_f64_e64 v[28:29], v[28:29], -v[34:35]
	v_add_f64_e64 v[30:31], v[34:35], -v[30:31]
	v_add_f64_e64 v[12:13], v[16:17], -v[12:13]
	v_mul_f64_e32 v[37:38], s[18:19], v[37:38]
	v_add_f64_e32 v[39:40], v[39:40], v[34:35]
	v_mul_f64_e32 v[43:44], s[10:11], v[43:44]
	v_add_f64_e32 v[24:25], v[22:23], v[24:25]
	v_add_f64_e64 v[22:23], v[22:23], -v[16:17]
	v_fma_f64 v[16:17], v[28:29], s[20:21], -v[37:38]
	v_mul_f64_e32 v[28:29], s[20:21], v[28:29]
	v_fma_f64 v[47:48], v[30:31], s[14:15], v[37:38]
	v_add_f64_e32 v[41:42], v[68:69], v[24:25]
	v_fma_f64 v[68:69], v[22:23], s[0:1], v[43:44]
	v_mul_f64_e32 v[22:23], s[0:1], v[22:23]
	v_fma_f64 v[16:17], v[39:40], s[4:5], v[16:17]
	v_fma_f64 v[28:29], v[30:31], s[22:23], -v[28:29]
	v_fma_f64 v[30:31], v[12:13], s[26:27], -v[43:44]
	v_fma_f64 v[24:25], v[24:25], s[12:13], v[41:42]
	v_fma_f64 v[47:48], v[39:40], s[4:5], v[47:48]
	v_fma_f64 v[12:13], v[12:13], s[24:25], -v[22:23]
	v_fma_f64 v[22:23], v[39:40], s[4:5], v[28:29]
	s_delay_alu instid0(VALU_DEP_4) | instskip(SKIP_1) | instid1(VALU_DEP_4)
	v_add_f64_e32 v[28:29], v[30:31], v[24:25]
	v_add_f64_e32 v[68:69], v[68:69], v[24:25]
	;; [unrolled: 1-line block ×3, first 2 shown]
	s_delay_alu instid0(VALU_DEP_3) | instskip(NEXT) | instid1(VALU_DEP_3)
	v_add_f64_e32 v[24:25], v[22:23], v[28:29]
	v_add_f64_e32 v[72:73], v[47:48], v[68:69]
	s_delay_alu instid0(VALU_DEP_3)
	v_add_f64_e64 v[30:31], v[12:13], -v[16:17]
	v_add_f64_e32 v[12:13], v[16:17], v[12:13]
	v_add_f64_e64 v[16:17], v[28:29], -v[22:23]
	v_add_f64_e64 v[18:19], v[68:69], -v[47:48]
	;; [unrolled: 1-line block ×5, first 2 shown]
	ds_store_2addr_b64 v219, v[41:42], v[72:73] offset0:32 offset1:88
	v_add_f64_e64 v[72:73], v[4:5], -v[2:3]
	ds_store_2addr_b64 v219, v[24:25], v[30:31] offset0:144 offset1:200
	ds_store_2addr_b64 v220, v[12:13], v[16:17] offset1:56
	v_add_f64_e32 v[12:13], v[2:3], v[8:9]
	v_add_f64_e64 v[16:17], v[2:3], -v[8:9]
	v_add_f64_e64 v[8:9], v[8:9], -v[4:5]
	v_mul_f64_e32 v[197:198], s[18:19], v[22:23]
	s_delay_alu instid0(VALU_DEP_4)
	v_add_f64_e32 v[2:3], v[4:5], v[12:13]
	v_add_f64_e64 v[4:5], v[49:50], -v[45:46]
	v_add_f64_e64 v[12:13], v[70:71], -v[54:55]
	ds_store_b64 v212, v[4:5] offset:8960
	ds_store_b64 v215, v[12:13] offset:12096
	ds_store_b64 v218, v[18:19] offset:15232
	v_add_f64_e32 v[199:200], v[14:15], v[2:3]
	v_mul_f64_e32 v[4:5], s[0:1], v[72:73]
	global_wb scope:SCOPE_SE
	s_wait_dscnt 0x0
	s_barrier_signal -1
	s_barrier_wait -1
	global_inv scope:SCOPE_SE
	v_add_f64_e32 v[70:71], v[20:21], v[6:7]
	v_mul_f64_e32 v[74:75], s[10:11], v[8:9]
	v_mul_f64_e32 v[6:7], s[20:21], v[0:1]
	v_fma_f64 v[0:1], v[0:1], s[20:21], -v[197:198]
	v_fma_f64 v[201:202], v[2:3], s[12:13], v[199:200]
	v_fma_f64 v[4:5], v[16:17], s[24:25], -v[4:5]
	v_fma_f64 v[72:73], v[72:73], s[0:1], v[74:75]
	;; [unrolled: 2-line block ×4, first 2 shown]
	v_add_f64_e32 v[207:208], v[4:5], v[201:202]
	ds_load_b64 v[4:5], v240
	ds_load_b64 v[90:91], v241
	;; [unrolled: 1-line block ×5, first 2 shown]
	s_clause 0x1
	scratch_load_b32 v231, off, off offset:124
	scratch_load_b32 v88, off, off offset:132
	v_fma_f64 v[205:206], v[70:71], s[4:5], v[6:7]
	v_fma_f64 v[68:69], v[70:71], s[4:5], v[68:69]
	v_add_f64_e32 v[70:71], v[72:73], v[201:202]
	v_add_f64_e32 v[209:210], v[2:3], v[201:202]
	;; [unrolled: 1-line block ×3, first 2 shown]
	s_delay_alu instid0(VALU_DEP_3)
	v_add_f64_e64 v[72:73], v[70:71], -v[68:69]
	v_add_f64_e32 v[68:69], v[68:69], v[70:71]
	s_wait_loadcnt 0x1
	ds_load_b64 v[100:101], v231
	s_wait_loadcnt 0x0
	ds_load_b64 v[98:99], v88
	ds_load_2addr_b64 v[244:247], v191 offset0:88 offset1:144
	ds_load_2addr_b64 v[8:11], v189 offset0:72 offset1:128
	;; [unrolled: 1-line block ×8, first 2 shown]
	ds_load_2addr_stride64_b64 v[0:3], v229 offset1:7
	ds_load_2addr_b64 v[32:35], v196 offset0:88 offset1:144
	ds_load_2addr_b64 v[24:27], v195 offset0:104 offset1:160
	;; [unrolled: 1-line block ×5, first 2 shown]
	global_wb scope:SCOPE_SE
	s_wait_dscnt 0x0
	s_barrier_signal -1
	s_barrier_wait -1
	global_inv scope:SCOPE_SE
	ds_store_2addr_b64 v229, v[199:200], v[72:73] offset1:56
	v_add_f64_e64 v[72:73], v[209:210], -v[205:206]
	v_add_f64_e64 v[188:189], v[207:208], -v[203:204]
	v_add_f64_e32 v[190:191], v[205:206], v[209:210]
	ds_store_2addr_b64 v229, v[72:73], v[74:75] offset0:112 offset1:168
	v_add_f64_e32 v[72:73], v[182:183], v[138:139]
	v_add_f64_e32 v[74:75], v[124:125], v[174:175]
	;; [unrolled: 1-line block ×3, first 2 shown]
	ds_store_2addr_b64 v211, v[188:189], v[190:191] offset0:96 offset1:152
	v_add_f64_e32 v[70:71], v[74:75], v[72:73]
	v_add_f64_e64 v[132:133], v[72:73], -v[124:125]
	v_add_f64_e64 v[72:73], v[74:75], -v[72:73]
	s_delay_alu instid0(VALU_DEP_3) | instskip(SKIP_1) | instid1(VALU_DEP_4)
	v_add_f64_e32 v[70:71], v[124:125], v[70:71]
	v_add_f64_e64 v[124:125], v[124:125], -v[74:75]
	v_mul_f64_e32 v[132:133], s[10:11], v[132:133]
	s_delay_alu instid0(VALU_DEP_3)
	v_add_f64_e32 v[80:81], v[80:81], v[70:71]
	ds_store_2addr_b64 v187, v[68:69], v[80:81] offset0:80 offset1:136
	v_add_f64_e64 v[68:69], v[108:109], -v[170:171]
	v_add_f64_e64 v[108:109], v[122:123], -v[164:165]
	v_add_f64_e64 v[122:123], v[180:181], -v[130:131]
	v_fma_f64 v[70:71], v[70:71], s[12:13], v[80:81]
	v_fma_f64 v[164:165], v[124:125], s[0:1], v[132:133]
	s_delay_alu instid0(VALU_DEP_4)
	v_add_f64_e64 v[80:81], v[108:109], -v[68:69]
	v_add_f64_e32 v[130:131], v[108:109], v[68:69]
	v_add_f64_e64 v[108:109], v[122:123], -v[108:109]
	v_add_f64_e64 v[68:69], v[68:69], -v[122:123]
	v_add_f64_e32 v[164:165], v[164:165], v[70:71]
	v_mul_f64_e32 v[80:81], s[18:19], v[80:81]
	v_add_f64_e32 v[130:131], v[130:131], v[122:123]
	s_delay_alu instid0(VALU_DEP_2) | instskip(SKIP_3) | instid1(VALU_DEP_4)
	v_fma_f64 v[138:139], v[108:109], s[14:15], v[80:81]
	v_fma_f64 v[74:75], v[68:69], s[20:21], -v[80:81]
	v_mul_f64_e32 v[68:69], s[20:21], v[68:69]
	v_mul_f64_e32 v[80:81], s[0:1], v[124:125]
	v_fma_f64 v[138:139], v[130:131], s[4:5], v[138:139]
	s_delay_alu instid0(VALU_DEP_4) | instskip(NEXT) | instid1(VALU_DEP_4)
	v_fma_f64 v[74:75], v[130:131], s[4:5], v[74:75]
	v_fma_f64 v[68:69], v[108:109], s[22:23], -v[68:69]
	s_delay_alu instid0(VALU_DEP_4) | instskip(SKIP_2) | instid1(VALU_DEP_4)
	v_fma_f64 v[80:81], v[72:73], s[24:25], -v[80:81]
	v_fma_f64 v[72:73], v[72:73], s[26:27], -v[132:133]
	v_add_f64_e64 v[166:167], v[164:165], -v[138:139]
	v_fma_f64 v[68:69], v[130:131], s[4:5], v[68:69]
	s_delay_alu instid0(VALU_DEP_4) | instskip(NEXT) | instid1(VALU_DEP_4)
	v_add_f64_e32 v[80:81], v[80:81], v[70:71]
	v_add_f64_e32 v[70:71], v[72:73], v[70:71]
	ds_store_b64 v224, v[166:167]
	v_add_f64_e64 v[72:73], v[80:81], -v[74:75]
	v_add_f64_e32 v[108:109], v[68:69], v[70:71]
	v_add_f64_e64 v[68:69], v[70:71], -v[68:69]
	v_add_f64_e32 v[70:71], v[74:75], v[80:81]
	;; [unrolled: 2-line block ×3, first 2 shown]
	v_add_f64_e64 v[74:75], v[168:169], -v[140:141]
	ds_store_2addr_b64 v221, v[72:73], v[108:109] offset0:104 offset1:160
	v_add_f64_e32 v[72:73], v[114:115], v[162:163]
	ds_store_2addr_b64 v193, v[68:69], v[70:71] offset0:120 offset1:176
	v_add_f64_e32 v[68:69], v[172:173], v[144:145]
	v_add_f64_e32 v[70:71], v[138:139], v[164:165]
	v_add_f64_e64 v[108:109], v[126:127], -v[152:153]
	s_delay_alu instid0(VALU_DEP_3)
	v_add_f64_e64 v[124:125], v[68:69], -v[106:107]
	ds_store_b64 v229, v[70:71] offset:5824
	v_add_f64_e32 v[70:71], v[72:73], v[68:69]
	v_add_f64_e64 v[114:115], v[108:109], -v[80:81]
	v_add_f64_e32 v[122:123], v[108:109], v[80:81]
	v_add_f64_e64 v[108:109], v[74:75], -v[108:109]
	v_add_f64_e64 v[68:69], v[72:73], -v[68:69]
	v_mul_f64_e32 v[124:125], s[10:11], v[124:125]
	v_add_f64_e32 v[70:71], v[106:107], v[70:71]
	v_mul_f64_e32 v[114:115], s[18:19], v[114:115]
	v_add_f64_e64 v[106:107], v[106:107], -v[72:73]
	v_add_f64_e32 v[122:123], v[122:123], v[74:75]
	v_add_f64_e64 v[74:75], v[80:81], -v[74:75]
	v_fma_f64 v[80:81], v[68:69], s[26:27], -v[124:125]
	v_add_f64_e32 v[78:79], v[78:79], v[70:71]
	v_fma_f64 v[126:127], v[108:109], s[14:15], v[114:115]
	v_fma_f64 v[130:131], v[106:107], s[0:1], v[124:125]
	v_fma_f64 v[72:73], v[74:75], s[20:21], -v[114:115]
	v_mul_f64_e32 v[74:75], s[20:21], v[74:75]
	v_fma_f64 v[70:71], v[70:71], s[12:13], v[78:79]
	v_fma_f64 v[126:127], v[122:123], s[4:5], v[126:127]
	s_delay_alu instid0(VALU_DEP_4) | instskip(NEXT) | instid1(VALU_DEP_4)
	v_fma_f64 v[72:73], v[122:123], s[4:5], v[72:73]
	v_fma_f64 v[74:75], v[108:109], s[22:23], -v[74:75]
	s_delay_alu instid0(VALU_DEP_4) | instskip(NEXT) | instid1(VALU_DEP_2)
	v_add_f64_e32 v[130:131], v[130:131], v[70:71]
	v_fma_f64 v[74:75], v[122:123], s[4:5], v[74:75]
	s_delay_alu instid0(VALU_DEP_2) | instskip(SKIP_2) | instid1(VALU_DEP_1)
	v_add_f64_e64 v[132:133], v[130:131], -v[126:127]
	ds_store_2addr_b64 v213, v[78:79], v[132:133] offset0:16 offset1:72
	v_mul_f64_e32 v[78:79], s[0:1], v[106:107]
	v_fma_f64 v[68:69], v[68:69], s[24:25], -v[78:79]
	v_add_f64_e32 v[78:79], v[80:81], v[70:71]
	s_delay_alu instid0(VALU_DEP_2) | instskip(NEXT) | instid1(VALU_DEP_2)
	v_add_f64_e32 v[68:69], v[68:69], v[70:71]
	v_add_f64_e64 v[70:71], v[78:79], -v[74:75]
	s_delay_alu instid0(VALU_DEP_2)
	v_add_f64_e32 v[80:81], v[72:73], v[68:69]
	v_add_f64_e64 v[68:69], v[68:69], -v[72:73]
	v_add_f64_e32 v[72:73], v[146:147], v[84:85]
	ds_store_2addr_b64 v213, v[70:71], v[80:81] offset0:128 offset1:184
	v_add_f64_e32 v[70:71], v[74:75], v[78:79]
	v_add_f64_e64 v[74:75], v[82:83], -v[142:143]
	ds_store_2addr_b64 v214, v[68:69], v[70:71] offset0:112 offset1:168
	v_add_f64_e32 v[68:69], v[120:121], v[112:113]
	v_add_f64_e64 v[70:71], v[116:117], -v[104:105]
	v_add_f64_e64 v[80:81], v[74:75], -v[56:57]
	v_add_f64_e32 v[82:83], v[74:75], v[56:57]
	s_delay_alu instid0(VALU_DEP_4) | instskip(SKIP_1) | instid1(VALU_DEP_4)
	v_add_f64_e32 v[78:79], v[58:59], v[68:69]
	v_add_f64_e64 v[84:85], v[68:69], -v[72:73]
	v_mul_f64_e32 v[80:81], s[18:19], v[80:81]
	v_add_f64_e64 v[56:57], v[56:57], -v[70:71]
	v_add_f64_e64 v[74:75], v[70:71], -v[74:75]
	v_add_f64_e32 v[82:83], v[82:83], v[70:71]
	v_add_f64_e32 v[78:79], v[72:73], v[78:79]
	v_add_f64_e64 v[72:73], v[72:73], -v[58:59]
	v_mul_f64_e32 v[84:85], s[10:11], v[84:85]
	v_add_f64_e64 v[58:59], v[58:59], -v[68:69]
	v_fma_f64 v[68:69], v[56:57], s[20:21], -v[80:81]
	v_mul_f64_e32 v[56:57], s[20:21], v[56:57]
	v_fma_f64 v[104:105], v[74:75], s[14:15], v[80:81]
	v_add_f64_e32 v[76:77], v[76:77], v[78:79]
	v_mul_f64_e32 v[70:71], s[0:1], v[72:73]
	v_fma_f64 v[106:107], v[72:73], s[0:1], v[84:85]
	v_fma_f64 v[72:73], v[58:59], s[26:27], -v[84:85]
	v_fma_f64 v[68:69], v[82:83], s[4:5], v[68:69]
	v_fma_f64 v[56:57], v[74:75], s[22:23], -v[56:57]
	v_fma_f64 v[104:105], v[82:83], s[4:5], v[104:105]
	v_fma_f64 v[78:79], v[78:79], s[12:13], v[76:77]
	v_fma_f64 v[58:59], v[58:59], s[24:25], -v[70:71]
	s_delay_alu instid0(VALU_DEP_4) | instskip(NEXT) | instid1(VALU_DEP_3)
	v_fma_f64 v[56:57], v[82:83], s[4:5], v[56:57]
	v_add_f64_e32 v[70:71], v[72:73], v[78:79]
	s_delay_alu instid0(VALU_DEP_3) | instskip(SKIP_1) | instid1(VALU_DEP_3)
	v_add_f64_e32 v[58:59], v[58:59], v[78:79]
	v_add_f64_e32 v[106:107], v[106:107], v[78:79]
	v_add_f64_e64 v[72:73], v[70:71], -v[56:57]
	s_delay_alu instid0(VALU_DEP_3)
	v_add_f64_e32 v[74:75], v[68:69], v[58:59]
	v_add_f64_e64 v[58:59], v[58:59], -v[68:69]
	v_add_f64_e32 v[56:57], v[56:57], v[70:71]
	v_add_f64_e64 v[108:109], v[106:107], -v[104:105]
	ds_store_2addr_b64 v217, v[72:73], v[74:75] offset0:8 offset1:64
	ds_store_2addr_b64 v217, v[58:59], v[56:57] offset0:120 offset1:176
	v_add_f64_e32 v[56:57], v[62:63], v[66:67]
	v_add_f64_e32 v[58:59], v[102:103], v[150:151]
	v_add_f64_e64 v[62:63], v[86:87], -v[148:149]
	v_add_f64_e64 v[66:67], v[128:129], -v[110:111]
	ds_store_2addr_b64 v216, v[76:77], v[108:109] offset0:152 offset1:208
	v_add_f64_e64 v[76:77], v[56:57], -v[64:65]
	v_add_f64_e32 v[68:69], v[58:59], v[56:57]
	v_add_f64_e64 v[56:57], v[58:59], -v[56:57]
	v_add_f64_e64 v[70:71], v[66:67], -v[62:63]
	v_add_f64_e32 v[72:73], v[66:67], v[62:63]
	v_add_f64_e64 v[66:67], v[60:61], -v[66:67]
	v_mul_f64_e32 v[76:77], s[10:11], v[76:77]
	v_add_f64_e32 v[68:69], v[64:65], v[68:69]
	v_add_f64_e64 v[64:65], v[64:65], -v[58:59]
	v_mul_f64_e32 v[70:71], s[18:19], v[70:71]
	v_add_f64_e32 v[72:73], v[72:73], v[60:61]
	v_add_f64_e64 v[60:61], v[62:63], -v[60:61]
	v_add_f64_e32 v[74:75], v[184:185], v[68:69]
	v_mul_f64_e32 v[62:63], s[0:1], v[64:65]
	v_fma_f64 v[80:81], v[64:65], s[0:1], v[76:77]
	v_fma_f64 v[64:65], v[56:57], s[26:27], -v[76:77]
	v_fma_f64 v[58:59], v[60:61], s[20:21], -v[70:71]
	v_mul_f64_e32 v[60:61], s[20:21], v[60:61]
	v_fma_f64 v[78:79], v[66:67], s[14:15], v[70:71]
	v_fma_f64 v[68:69], v[68:69], s[12:13], v[74:75]
	v_fma_f64 v[56:57], v[56:57], s[24:25], -v[62:63]
	v_fma_f64 v[58:59], v[72:73], s[4:5], v[58:59]
	v_fma_f64 v[60:61], v[66:67], s[22:23], -v[60:61]
	v_fma_f64 v[78:79], v[72:73], s[4:5], v[78:79]
	v_add_f64_e32 v[62:63], v[64:65], v[68:69]
	v_add_f64_e32 v[56:57], v[56:57], v[68:69]
	;; [unrolled: 1-line block ×3, first 2 shown]
	v_fma_f64 v[60:61], v[72:73], s[4:5], v[60:61]
	s_delay_alu instid0(VALU_DEP_3) | instskip(SKIP_1) | instid1(VALU_DEP_4)
	v_add_f64_e32 v[66:67], v[58:59], v[56:57]
	v_add_f64_e64 v[56:57], v[56:57], -v[58:59]
	v_add_f64_e64 v[82:83], v[80:81], -v[78:79]
	s_delay_alu instid0(VALU_DEP_4)
	v_add_f64_e32 v[58:59], v[60:61], v[62:63]
	v_add_f64_e64 v[64:65], v[62:63], -v[60:61]
	ds_store_2addr_b64 v219, v[74:75], v[82:83] offset0:32 offset1:88
	ds_store_2addr_b64 v220, v[56:57], v[58:59] offset1:56
	v_add_f64_e32 v[56:57], v[126:127], v[130:131]
	v_add_f64_e32 v[58:59], v[104:105], v[106:107]
	ds_store_2addr_b64 v219, v[64:65], v[66:67] offset0:144 offset1:200
	ds_store_b64 v212, v[56:57] offset:8960
	v_add_f64_e32 v[56:57], v[78:79], v[80:81]
	ds_store_b64 v215, v[58:59] offset:12096
	ds_store_b64 v218, v[56:57] offset:15232
	global_wb scope:SCOPE_SE
	s_wait_dscnt 0x0
	s_barrier_signal -1
	s_barrier_wait -1
	global_inv scope:SCOPE_SE
	s_and_saveexec_b32 s0, vcc_lo
	s_cbranch_execz .LBB0_29
; %bb.28:
	scratch_load_b32 v56, off, off offset:120 th:TH_LOAD_LU ; 4-byte Folded Reload
	v_dual_mov_b32 v103, 0 :: v_dual_mov_b32 v232, v88
	v_add_nc_u32_e32 v89, 0x3800, v229
	v_add_nc_u32_e32 v192, 0x1000, v229
	;; [unrolled: 1-line block ×3, first 2 shown]
	v_mul_lo_u32 v218, s3, v178
	v_mul_lo_u32 v239, s2, v179
	s_mov_b32 s11, 0xbfee6f0e
	s_mov_b32 s4, 0x4755a5e
	;; [unrolled: 1-line block ×6, first 2 shown]
	s_wait_loadcnt 0x0
	v_lshlrev_b32_e32 v102, 2, v56
	scratch_load_b32 v56, off, off th:TH_LOAD_LU ; 4-byte Folded Reload
	v_dual_mov_b32 v65, v103 :: v_dual_lshlrev_b32 v64, 2, v223
	v_dual_mov_b32 v83, v103 :: v_dual_lshlrev_b32 v82, 2, v222
	v_lshlrev_b64_e32 v[58:59], 4, v[102:103]
	v_dual_mov_b32 v115, v103 :: v_dual_lshlrev_b32 v114, 2, v255
	s_delay_alu instid0(VALU_DEP_4) | instskip(NEXT) | instid1(VALU_DEP_4)
	v_lshlrev_b64_e32 v[64:65], 4, v[64:65]
	v_lshlrev_b64_e32 v[112:113], 4, v[82:83]
	v_dual_mov_b32 v133, v103 :: v_dual_lshlrev_b32 v132, 2, v186
	v_add_co_u32 v104, vcc_lo, s8, v58
	s_wait_alu 0xfffd
	v_add_co_ci_u32_e32 v105, vcc_lo, s9, v59, vcc_lo
	v_lshlrev_b64_e32 v[120:121], 4, v[114:115]
	v_lshlrev_b64_e32 v[142:143], 4, v[132:133]
	s_wait_loadcnt 0x0
	v_dual_mov_b32 v57, v103 :: v_dual_lshlrev_b32 v56, 2, v56
	s_delay_alu instid0(VALU_DEP_1) | instskip(NEXT) | instid1(VALU_DEP_1)
	v_lshlrev_b64_e32 v[56:57], 4, v[56:57]
	v_add_co_u32 v80, vcc_lo, s8, v56
	s_wait_alu 0xfffd
	s_delay_alu instid0(VALU_DEP_2)
	v_add_co_ci_u32_e32 v81, vcc_lo, s9, v57, vcc_lo
	v_add_co_u32 v106, vcc_lo, s8, v64
	s_wait_alu 0xfffd
	v_add_co_ci_u32_e32 v107, vcc_lo, s9, v65, vcc_lo
	v_add_co_u32 v140, vcc_lo, s8, v112
	s_wait_alu 0xfffd
	;; [unrolled: 3-line block ×3, first 2 shown]
	v_add_co_ci_u32_e32 v165, vcc_lo, s9, v121, vcc_lo
	s_clause 0x10
	global_load_b128 v[56:59], v[104:105], off offset:6224
	global_load_b128 v[60:63], v[80:81], off offset:6224
	;; [unrolled: 1-line block ×17, first 2 shown]
	scratch_load_b32 v88, off, off offset:116 th:TH_LOAD_LU ; 4-byte Folded Reload
	v_add_co_u32 v160, vcc_lo, s8, v142
	s_wait_alu 0xfffd
	v_add_co_ci_u32_e32 v161, vcc_lo, s9, v143, vcc_lo
	s_clause 0x6
	global_load_b128 v[140:143], v[140:141], off offset:6208
	global_load_b128 v[144:147], v[160:161], off offset:6224
	;; [unrolled: 1-line block ×7, first 2 shown]
	s_wait_loadcnt 0x17
	v_mul_f64_e32 v[213:214], v[52:53], v[62:63]
	s_wait_loadcnt 0x16
	v_mul_f64_e32 v[215:216], v[50:51], v[78:79]
	;; [unrolled: 2-line block ×7, first 2 shown]
	s_wait_loadcnt 0x7
	v_lshlrev_b32_e32 v102, 2, v88
	v_add_nc_u32_e32 v88, 0x2000, v229
	s_delay_alu instid0(VALU_DEP_2) | instskip(NEXT) | instid1(VALU_DEP_1)
	v_lshlrev_b64_e32 v[102:103], 4, v[102:103]
	v_add_co_u32 v102, vcc_lo, s8, v102
	s_wait_alu 0xfffd
	s_delay_alu instid0(VALU_DEP_2)
	v_add_co_ci_u32_e32 v103, vcc_lo, s9, v103, vcc_lo
	s_clause 0x3
	global_load_b128 v[168:171], v[102:103], off offset:6224
	global_load_b128 v[172:175], v[102:103], off offset:6208
	;; [unrolled: 1-line block ×4, first 2 shown]
	ds_load_2addr_b64 v[188:191], v88 offset0:40 offset1:96
	ds_load_2addr_b64 v[197:200], v89 offset0:56 offset1:112
	v_mul_f64_e32 v[102:103], v[54:55], v[58:59]
	v_add_nc_u32_e32 v89, 0x2800, v229
	ds_load_2addr_b64 v[205:208], v192 offset0:104 offset1:160
	ds_load_2addr_b64 v[209:212], v217 offset0:184 offset1:240
	s_mov_b32 s8, 0x134454ff
	s_mov_b32 s9, 0x3fee6f0e
	ds_load_2addr_b64 v[201:204], v89 offset0:120 offset1:176
	s_wait_alu 0xfffe
	s_mov_b32 s10, s8
	s_wait_dscnt 0x4
	v_mul_f64_e32 v[58:59], v[190:191], v[58:59]
	v_mul_f64_e32 v[62:63], v[188:189], v[62:63]
	s_wait_dscnt 0x3
	v_mul_f64_e32 v[78:79], v[199:200], v[78:79]
	v_mul_f64_e32 v[74:75], v[197:198], v[74:75]
	s_wait_dscnt 0x2
	v_mul_f64_e32 v[235:236], v[207:208], v[86:87]
	v_fma_f64 v[188:189], v[60:61], v[188:189], -v[213:214]
	v_mul_f64_e32 v[82:83], v[205:206], v[82:83]
	v_mul_f64_e32 v[213:214], v[38:39], v[110:111]
	s_wait_dscnt 0x0
	v_mul_f64_e32 v[223:224], v[203:204], v[70:71]
	v_mul_f64_e32 v[227:228], v[201:202], v[66:67]
	;; [unrolled: 1-line block ×3, first 2 shown]
	v_mad_co_u64_u32 v[86:87], null, s2, v178, 0
	v_fma_f64 v[199:200], v[76:77], v[199:200], -v[215:216]
	v_fma_f64 v[197:198], v[72:73], v[197:198], -v[219:220]
	v_mul_f64_e32 v[219:220], v[34:35], v[122:123]
	v_fma_f64 v[203:204], v[68:69], v[203:204], -v[221:222]
	v_fma_f64 v[201:202], v[64:65], v[201:202], -v[225:226]
	;; [unrolled: 1-line block ×5, first 2 shown]
	s_wait_loadcnt 0x6
	v_mul_f64_e32 v[233:234], v[26:27], v[158:159]
	v_add3_u32 v87, v87, v239, v218
	s_mov_b32 s2, s4
	v_fma_f64 v[190:191], v[54:55], v[56:57], v[58:59]
	ds_load_2addr_b64 v[54:57], v196 offset0:88 offset1:144
	v_fma_f64 v[178:179], v[52:53], v[60:61], v[62:63]
	ds_load_2addr_b64 v[58:61], v195 offset0:104 offset1:160
	ds_load_b64 v[195:196], v232
	v_fma_f64 v[76:77], v[50:51], v[76:77], v[78:79]
	v_mul_f64_e32 v[78:79], v[36:37], v[114:115]
	v_mul_f64_e32 v[114:115], v[209:210], v[114:115]
	v_fma_f64 v[74:75], v[48:49], v[72:73], v[74:75]
	ds_load_2addr_b64 v[70:73], v193 offset0:120 offset1:176
	v_mul_f64_e32 v[192:193], v[32:33], v[118:119]
	ds_load_2addr_b64 v[50:53], v194 offset0:72 offset1:128
	v_fma_f64 v[215:216], v[46:47], v[68:69], v[223:224]
	ds_load_2addr_b64 v[46:49], v89 offset0:8 offset1:64
	ds_load_2addr_stride64_b64 v[66:69], v229 offset1:7
	v_fma_f64 v[221:222], v[44:45], v[64:65], v[227:228]
	ds_load_b64 v[223:224], v230
	ds_load_b64 v[225:226], v231
	v_fma_f64 v[84:85], v[42:43], v[84:85], v[235:236]
	ds_load_2addr_b64 v[42:45], v217 offset0:72 offset1:128
	v_fma_f64 v[80:81], v[40:41], v[80:81], v[82:83]
	v_fma_f64 v[211:212], v[108:109], v[211:212], -v[213:214]
	v_fma_f64 v[108:109], v[38:39], v[108:109], v[110:111]
	s_wait_dscnt 0x9
	v_mul_f64_e32 v[118:119], v[54:55], v[118:119]
	v_mul_f64_e32 v[122:123], v[56:57], v[122:123]
	ds_load_2addr_b64 v[38:41], v88 offset0:152 offset1:208
	v_fma_f64 v[56:57], v[120:121], v[56:57], -v[219:220]
	v_add_nc_u32_e32 v62, 0x3000, v229
	v_mul_f64_e32 v[227:228], v[24:25], v[126:127]
	s_wait_dscnt 0x9
	v_mul_f64_e32 v[126:127], v[58:59], v[126:127]
	v_mul_f64_e32 v[229:230], v[30:31], v[106:107]
	;; [unrolled: 1-line block ×3, first 2 shown]
	s_wait_dscnt 0x6
	v_mul_f64_e32 v[106:107], v[52:53], v[106:107]
	v_mul_f64_e32 v[82:83], v[18:19], v[134:135]
	s_wait_dscnt 0x5
	v_mul_f64_e32 v[134:135], v[48:49], v[134:135]
	v_mul_f64_e32 v[110:111], v[100:101], v[138:139]
	v_mul_f64_e32 v[213:214], v[22:23], v[142:143]
	v_mul_f64_e32 v[142:143], v[72:73], v[142:143]
	ds_load_2addr_b64 v[62:65], v62 offset0:88 offset1:144
	v_mul_f64_e32 v[130:131], v[50:51], v[130:131]
	v_fma_f64 v[78:79], v[112:113], v[209:210], -v[78:79]
	v_fma_f64 v[36:37], v[36:37], v[112:113], v[114:115]
	v_mul_f64_e32 v[112:113], v[10:11], v[146:147]
	v_mul_f64_e32 v[114:115], v[20:21], v[150:151]
	;; [unrolled: 1-line block ×3, first 2 shown]
	v_fma_f64 v[54:55], v[116:117], v[54:55], -v[192:193]
	v_add_f64_e64 v[219:220], v[205:206], -v[211:212]
	v_add_f64_e64 v[237:238], v[80:81], -v[108:109]
	v_fma_f64 v[32:33], v[32:33], v[116:117], v[118:119]
	s_wait_dscnt 0x2
	v_mul_f64_e32 v[118:119], v[44:45], v[146:147]
	v_mul_f64_e32 v[146:147], v[46:47], v[154:155]
	s_wait_loadcnt 0x4
	v_mul_f64_e32 v[154:155], v[12:13], v[166:167]
	v_fma_f64 v[34:35], v[34:35], v[120:121], v[122:123]
	v_mul_f64_e32 v[120:121], v[70:71], v[150:151]
	v_mul_f64_e32 v[122:123], v[225:226], v[138:139]
	s_wait_dscnt 0x1
	v_mul_f64_e32 v[150:151], v[38:39], v[166:167]
	v_mul_f64_e32 v[138:139], v[60:61], v[158:159]
	v_mul_f64_e32 v[116:117], v[246:247], v[162:163]
	v_fma_f64 v[58:59], v[124:125], v[58:59], -v[227:228]
	v_fma_f64 v[24:25], v[24:25], v[124:125], v[126:127]
	s_wait_dscnt 0x0
	v_mul_f64_e32 v[124:125], v[64:65], v[162:163]
	v_fma_f64 v[52:53], v[104:105], v[52:53], -v[229:230]
	v_fma_f64 v[30:31], v[30:31], v[104:105], v[106:107]
	v_fma_f64 v[50:51], v[128:129], v[50:51], -v[231:232]
	v_fma_f64 v[48:49], v[132:133], v[48:49], -v[82:83]
	v_fma_f64 v[18:19], v[18:19], v[132:133], v[134:135]
	v_fma_f64 v[110:111], v[136:137], v[225:226], -v[110:111]
	;; [unrolled: 3-line block ×3, first 2 shown]
	v_add_f64_e64 v[231:232], v[108:109], -v[80:81]
	v_add_f64_e32 v[227:228], v[211:212], v[201:202]
	v_add_f64_e64 v[192:193], v[211:212], -v[205:206]
	v_add_f64_e64 v[88:89], v[102:103], -v[54:55]
	v_fma_f64 v[10:11], v[10:11], v[144:145], v[118:119]
	v_fma_f64 v[16:17], v[16:17], v[152:153], v[146:147]
	v_fma_f64 v[154:155], v[164:165], v[38:39], -v[154:155]
	v_add_f64_e64 v[118:119], v[190:191], -v[32:33]
	v_fma_f64 v[20:21], v[20:21], v[148:149], v[120:121]
	v_fma_f64 v[38:39], v[100:101], v[136:137], v[122:123]
	;; [unrolled: 1-line block ×5, first 2 shown]
	v_fma_f64 v[26:27], v[144:145], v[44:45], -v[112:113]
	v_fma_f64 v[28:29], v[148:149], v[70:71], -v[114:115]
	;; [unrolled: 1-line block ×3, first 2 shown]
	v_fma_f64 v[114:115], v[246:247], v[160:161], v[124:125]
	v_add_f64_e64 v[64:65], v[32:33], -v[76:77]
	v_add_f64_e64 v[122:123], v[24:25], -v[76:77]
	v_add_f64_e32 v[124:125], v[32:33], v[76:77]
	v_add_f64_e64 v[128:129], v[32:33], -v[190:191]
	v_add_f64_e32 v[138:139], v[190:191], v[24:25]
	v_add_f64_e32 v[32:33], v[98:99], v[32:33]
	v_add_f64_e64 v[233:234], v[221:222], -v[30:31]
	v_add_f64_e32 v[235:236], v[80:81], v[30:31]
	v_add_f64_e64 v[247:248], v[48:49], -v[50:51]
	v_fma_f64 v[44:45], v[152:153], v[46:47], -v[209:210]
	v_add_f64_e64 v[46:47], v[190:191], -v[24:25]
	v_add_f64_e32 v[70:71], v[102:103], v[58:59]
	v_add_f64_e64 v[152:153], v[207:208], -v[188:189]
	v_add_f64_e64 v[156:157], v[197:198], -v[203:204]
	v_add_f64_e32 v[160:161], v[207:208], v[223:224]
	v_add_f64_e32 v[249:250], v[72:73], v[50:51]
	v_add_f64_e64 v[144:145], v[188:189], -v[207:208]
	v_add_f64_e64 v[146:147], v[203:204], -v[197:198]
	;; [unrolled: 1-line block ×3, first 2 shown]
	v_add_f64_e32 v[150:151], v[207:208], v[197:198]
	v_add_f64_e64 v[225:226], v[52:53], -v[201:202]
	v_add_f64_e32 v[213:214], v[205:206], v[52:53]
	v_add_f64_e64 v[209:210], v[201:202], -v[52:53]
	v_add_f64_e64 v[164:165], v[215:216], -v[74:75]
	v_add_f64_e32 v[130:131], v[110:111], v[166:167]
	v_add_f64_e64 v[207:208], v[207:208], -v[197:198]
	v_add_f64_e32 v[251:252], v[0:1], v[38:39]
	v_add_f64_e32 v[142:143], v[34:35], v[100:101]
	;; [unrolled: 1-line block ×4, first 2 shown]
	v_add_f64_e64 v[122:123], v[18:19], -v[12:13]
	v_fma_f64 v[124:125], v[124:125], -0.5, v[98:99]
	v_fma_f64 v[98:99], v[138:139], -0.5, v[98:99]
	v_add_f64_e64 v[138:139], v[22:23], -v[36:37]
	v_add_f64_e32 v[32:33], v[190:191], v[32:33]
	v_add_f64_e64 v[190:191], v[12:13], -v[18:19]
	v_add_f64_e32 v[231:232], v[231:232], v[233:234]
	v_add_f64_e64 v[233:234], v[20:21], -v[10:11]
	v_fma_f64 v[235:236], v[235:236], -0.5, v[94:95]
	v_fma_f64 v[70:71], v[70:71], -0.5, v[195:196]
	v_add_f64_e32 v[152:153], v[152:153], v[156:157]
	v_add_f64_e32 v[156:157], v[92:93], v[22:23]
	;; [unrolled: 1-line block ×5, first 2 shown]
	v_fma_f64 v[150:151], v[150:151], -0.5, v[223:224]
	v_add_f64_e32 v[219:220], v[219:220], v[225:226]
	v_add_f64_e64 v[225:226], v[10:11], -v[20:21]
	v_add_f64_e32 v[192:193], v[192:193], v[209:210]
	v_add_f64_e32 v[209:210], v[26:27], v[44:45]
	v_fma_f64 v[130:131], v[130:131], -0.5, v[66:67]
	v_add_f64_e32 v[251:252], v[34:35], v[251:252]
	v_fma_f64 v[142:143], v[142:143], -0.5, v[0:1]
	v_fma_f64 v[140:141], v[140:141], -0.5, v[0:1]
	v_add_f64_e64 v[0:1], v[72:73], -v[78:79]
	v_add_f64_e32 v[138:139], v[138:139], v[190:191]
	s_wait_loadcnt 0x3
	v_mul_f64_e32 v[126:127], v[8:9], v[170:171]
	s_wait_loadcnt 0x2
	v_mul_f64_e32 v[104:105], v[2:3], v[174:175]
	;; [unrolled: 2-line block ×4, first 2 shown]
	v_mul_f64_e32 v[82:83], v[40:41], v[182:183]
	v_mul_f64_e32 v[134:135], v[62:63], v[186:187]
	;; [unrolled: 1-line block ×4, first 2 shown]
	ds_load_b64 v[60:61], v243
	ds_load_b64 v[170:171], v242
	;; [unrolled: 1-line block ×4, first 2 shown]
	v_add_f64_e64 v[239:240], v[30:31], -v[221:222]
	v_add_f64_e32 v[241:242], v[108:109], v[221:222]
	v_add_f64_e32 v[186:187], v[96:97], v[84:85]
	scratch_store_b64 off, v[142:143], off offset:64 ; 8-byte Folded Spill
	s_wait_dscnt 0x3
	v_add_f64_e32 v[229:230], v[205:206], v[60:61]
	v_fma_f64 v[213:214], v[213:214], -0.5, v[60:61]
	v_fma_f64 v[227:228], v[227:228], -0.5, v[60:61]
	v_add_f64_e64 v[60:61], v[16:17], -v[114:115]
	v_add_f64_e64 v[205:206], v[205:206], -v[52:53]
	v_fma_f64 v[6:7], v[168:169], v[42:43], -v[126:127]
	v_fma_f64 v[42:43], v[172:173], v[68:69], -v[104:105]
	;; [unrolled: 1-line block ×4, first 2 shown]
	v_fma_f64 v[82:83], v[14:15], v[180:181], v[82:83]
	v_fma_f64 v[120:121], v[244:245], v[184:185], v[134:135]
	v_add_f64_e64 v[14:15], v[58:59], -v[199:200]
	v_add_f64_e64 v[62:63], v[54:55], -v[102:103]
	;; [unrolled: 1-line block ×3, first 2 shown]
	v_add_f64_e32 v[106:107], v[54:55], v[195:196]
	v_add_f64_e64 v[245:246], v[78:79], -v[72:73]
	v_fma_f64 v[8:9], v[8:9], v[168:169], v[162:163]
	v_fma_f64 v[2:3], v[2:3], v[172:173], v[132:133]
	v_add_f64_e32 v[40:41], v[54:55], v[199:200]
	v_add_f64_e64 v[126:127], v[102:103], -v[58:59]
	v_add_f64_e64 v[134:135], v[76:77], -v[24:25]
	v_add_f64_e32 v[243:244], v[94:95], v[80:81]
	v_add_f64_e32 v[237:238], v[237:238], v[239:240]
	v_add_f64_e64 v[239:240], v[114:115], -v[16:17]
	v_fma_f64 v[94:95], v[241:242], -0.5, v[94:95]
	v_add_f64_e32 v[241:242], v[20:21], v[114:115]
	v_add_f64_e64 v[162:163], v[178:179], -v[84:85]
	v_add_f64_e64 v[172:173], v[84:85], -v[178:179]
	;; [unrolled: 1-line block ×3, first 2 shown]
	v_add_f64_e32 v[184:185], v[178:179], v[215:216]
	v_add_f64_e32 v[178:179], v[178:179], v[186:187]
	;; [unrolled: 1-line block ×5, first 2 shown]
	v_add_f64_e64 v[188:189], v[188:189], -v[203:204]
	v_add_f64_e64 v[32:33], v[10:11], -v[16:17]
	;; [unrolled: 1-line block ×4, first 2 shown]
	v_add_f64_e32 v[229:230], v[211:212], v[229:230]
	v_add_f64_e64 v[84:85], v[84:85], -v[74:75]
	v_add_f64_e32 v[225:226], v[225:226], v[60:61]
	v_add_f64_e32 v[132:133], v[56:57], v[154:155]
	v_add_f64_e64 v[80:81], v[80:81], -v[30:31]
	v_add_f64_e64 v[211:212], v[211:212], -v[201:202]
	s_wait_dscnt 0x0
	v_add_f64_e32 v[60:61], v[42:43], v[182:183]
	v_add_f64_e64 v[190:191], v[104:105], -v[116:117]
	v_add_f64_e32 v[88:89], v[88:89], v[14:15]
	v_add_f64_e64 v[14:15], v[50:51], -v[48:49]
	v_add_f64_e32 v[142:143], v[62:63], v[68:69]
	v_add_f64_e32 v[62:63], v[78:79], v[48:49]
	;; [unrolled: 1-line block ×3, first 2 shown]
	v_add_f64_e64 v[106:107], v[36:37], -v[22:23]
	v_add_f64_e32 v[245:246], v[245:246], v[247:248]
	v_add_f64_e32 v[247:248], v[10:11], v[16:17]
	v_fma_f64 v[40:41], v[40:41], -0.5, v[195:196]
	v_add_f64_e32 v[194:195], v[72:73], v[170:171]
	v_add_f64_e32 v[128:129], v[128:129], v[134:135]
	v_add_f64_e32 v[134:135], v[22:23], v[12:13]
	v_add_f64_e32 v[233:234], v[233:234], v[239:240]
	v_add_f64_e32 v[239:240], v[2:3], v[120:121]
	v_fma_f64 v[241:242], v[241:242], -0.5, v[90:91]
	v_add_f64_e64 v[68:69], v[8:9], -v[2:3]
	v_add_f64_e32 v[243:244], v[108:109], v[243:244]
	v_add_f64_e32 v[172:173], v[172:173], v[180:181]
	;; [unrolled: 1-line block ×4, first 2 shown]
	v_add_f64_e64 v[215:216], v[42:43], -v[116:117]
	v_fma_f64 v[168:169], v[168:169], -0.5, v[96:97]
	v_fma_f64 v[96:97], v[184:185], -0.5, v[96:97]
	v_add_f64_e64 v[184:185], v[28:29], -v[26:27]
	v_fma_f64 v[158:159], v[158:159], -0.5, v[223:224]
	v_add_f64_e64 v[223:224], v[26:27], -v[28:29]
	v_add_f64_e32 v[162:163], v[162:163], v[164:165]
	v_add_f64_e64 v[164:165], v[44:45], -v[112:113]
	v_add_f64_e64 v[108:109], v[108:109], -v[221:222]
	;; [unrolled: 1-line block ×3, first 2 shown]
	v_fma_f64 v[132:133], v[132:133], -0.5, v[66:67]
	v_add_f64_e32 v[66:67], v[110:111], v[66:67]
	v_add_f64_e32 v[60:61], v[6:7], v[60:61]
	v_add_f64_e32 v[253:254], v[0:1], v[14:15]
	v_fma_f64 v[14:15], v[249:250], -0.5, v[170:171]
	v_fma_f64 v[170:171], v[62:63], -0.5, v[170:171]
	v_add_f64_e32 v[62:63], v[90:91], v[20:21]
	v_add_f64_e32 v[106:107], v[106:107], v[122:123]
	v_add_f64_e64 v[122:123], v[6:7], -v[42:43]
	v_fma_f64 v[90:91], v[247:248], -0.5, v[90:91]
	v_add_f64_e32 v[247:248], v[8:9], v[82:83]
	v_add_f64_e64 v[249:250], v[22:23], -v[12:13]
	v_add_f64_e32 v[22:23], v[58:59], v[102:103]
	v_add_f64_e32 v[58:59], v[4:5], v[2:3]
	v_fma_f64 v[134:135], v[134:135], -0.5, v[92:93]
	v_fma_f64 v[239:240], v[239:240], -0.5, v[4:5]
	;; [unrolled: 1-line block ×3, first 2 shown]
	v_add_f64_e64 v[146:147], v[36:37], -v[18:19]
	v_add_f64_e32 v[36:37], v[36:37], v[156:157]
	v_add_f64_e32 v[194:195], v[78:79], v[194:195]
	v_fma_f64 v[180:181], v[180:181], -0.5, v[174:175]
	v_add_f64_e64 v[156:157], v[42:43], -v[6:7]
	v_add_f64_e64 v[78:79], v[78:79], -v[48:49]
	s_wait_alu 0xfffe
	v_fma_f64 v[217:218], v[46:47], s[10:11], v[40:41]
	v_add_f64_e32 v[0:1], v[28:29], v[174:175]
	v_add_f64_e32 v[184:185], v[184:185], v[186:187]
	;; [unrolled: 1-line block ×4, first 2 shown]
	v_fma_f64 v[174:175], v[209:210], -0.5, v[174:175]
	v_add_f64_e64 v[102:103], v[20:21], -v[114:115]
	v_add_f64_e32 v[221:222], v[243:244], v[221:222]
	v_add_f64_e32 v[164:165], v[223:224], v[164:165]
	v_add_f64_e64 v[223:224], v[116:117], -v[104:105]
	v_add_f64_e32 v[209:210], v[6:7], v[104:105]
	v_add_f64_e64 v[20:21], v[8:9], -v[82:83]
	v_add_f64_e64 v[28:29], v[28:29], -v[112:113]
	v_add_f64_e64 v[229:230], v[6:7], -v[104:105]
	v_add_f64_e64 v[201:202], v[154:155], -v[166:167]
	v_add_f64_e64 v[243:244], v[120:121], -v[82:83]
	v_add_f64_e32 v[10:11], v[10:11], v[62:63]
	v_add_f64_e32 v[62:63], v[203:204], v[160:161]
	;; [unrolled: 1-line block ×3, first 2 shown]
	v_add_f64_e64 v[190:191], v[2:3], -v[120:121]
	v_add_f64_e64 v[203:204], v[2:3], -v[8:9]
	v_fma_f64 v[247:248], v[247:248], -0.5, v[4:5]
	v_add_f64_e32 v[4:5], v[199:200], v[22:23]
	v_add_f64_e32 v[2:3], v[24:25], v[76:77]
	scratch_store_b64 off, v[68:69], off offset:72 ; 8-byte Folded Spill
	v_add_f64_e32 v[68:69], v[8:9], v[58:59]
	v_fma_f64 v[58:59], v[46:47], s[8:9], v[40:41]
	v_add_f64_e64 v[40:41], v[38:39], -v[34:35]
	v_add_f64_e32 v[18:19], v[36:37], v[18:19]
	v_add_f64_e32 v[48:49], v[48:49], v[194:195]
	v_add_f64_e64 v[36:37], v[34:35], -v[100:101]
	v_add_f64_e64 v[194:195], v[34:35], -v[38:39]
	v_fma_f64 v[34:35], v[54:55], s[8:9], v[98:99]
	v_fma_f64 v[98:99], v[54:55], s[10:11], v[98:99]
	v_add_f64_e64 v[160:161], v[110:111], -v[56:57]
	v_add_f64_e64 v[8:9], v[56:57], -v[154:155]
	v_fma_f64 v[76:77], v[64:65], s[10:11], v[70:71]
	v_fma_f64 v[70:71], v[64:65], s[8:9], v[70:71]
	v_add_f64_e32 v[0:1], v[26:27], v[0:1]
	v_fma_f64 v[186:187], v[186:187], -0.5, v[182:183]
	v_add_f64_e64 v[26:27], v[26:27], -v[44:45]
	v_add_f64_e32 v[156:157], v[156:157], v[223:224]
	v_add_f64_e64 v[223:224], v[56:57], -v[110:111]
	v_add_f64_e32 v[56:57], v[56:57], v[66:67]
	v_fma_f64 v[66:67], v[126:127], s[10:11], v[124:125]
	v_fma_f64 v[124:125], v[126:127], s[8:9], v[124:125]
	v_fma_f64 v[182:183], v[209:210], -0.5, v[182:183]
	v_add_f64_e64 v[209:210], v[38:39], -v[136:137]
	v_add_f64_e64 v[110:111], v[110:111], -v[166:167]
	v_add_f64_e32 v[38:39], v[10:11], v[16:17]
	v_fma_f64 v[16:17], v[205:206], s[8:9], v[94:95]
	v_fma_f64 v[94:95], v[205:206], s[10:11], v[94:95]
	scratch_store_b128 off, v[2:5], off     ; 16-byte Folded Spill
	v_add_f64_e32 v[4:5], v[197:198], v[62:63]
	v_add_f64_e32 v[2:3], v[178:179], v[74:75]
	v_fma_f64 v[62:63], v[148:149], s[8:9], v[150:151]
	v_fma_f64 v[74:75], v[148:149], s[10:11], v[150:151]
	v_fma_f64 v[150:151], v[84:85], s[10:11], v[158:159]
	v_fma_f64 v[158:159], v[84:85], s[8:9], v[158:159]
	v_fma_f64 v[58:59], v[64:65], s[4:5], v[58:59]
	v_fma_f64 v[178:179], v[211:212], s[8:9], v[235:236]
	v_fma_f64 v[34:35], v[126:127], s[2:3], v[34:35]
	v_fma_f64 v[64:65], v[64:65], s[2:3], v[217:218]
	v_add_f64_e32 v[68:69], v[68:69], v[82:83]
	v_fma_f64 v[76:77], v[46:47], s[4:5], v[76:77]
	v_fma_f64 v[46:47], v[46:47], s[2:3], v[70:71]
	;; [unrolled: 1-line block ×4, first 2 shown]
	v_add_f64_e32 v[22:23], v[44:45], v[0:1]
	v_fma_f64 v[44:45], v[211:212], s[10:11], v[235:236]
	v_add_f64_e32 v[56:57], v[154:155], v[56:57]
	v_fma_f64 v[66:67], v[54:55], s[2:3], v[66:67]
	v_fma_f64 v[54:55], v[54:55], s[4:5], v[124:125]
	;; [unrolled: 1-line block ×7, first 2 shown]
	scratch_store_b128 off, v[2:5], off offset:16 ; 16-byte Folded Spill
	v_fma_f64 v[62:63], v[84:85], s[4:5], v[62:63]
	v_fma_f64 v[74:75], v[84:85], s[2:3], v[74:75]
	;; [unrolled: 1-line block ×4, first 2 shown]
	v_add_f64_e32 v[4:5], v[52:53], v[42:43]
	v_fma_f64 v[42:43], v[126:127], s[4:5], v[98:99]
	scratch_load_b64 v[98:99], off, off offset:64 th:TH_LOAD_LU ; 8-byte Folded Reload
	v_fma_f64 v[150:151], v[148:149], s[4:5], v[150:151]
	v_fma_f64 v[158:159], v[148:149], s[2:3], v[158:159]
	;; [unrolled: 1-line block ×4, first 2 shown]
	v_add_f64_e32 v[2:3], v[221:222], v[30:31]
	v_fma_f64 v[30:31], v[188:189], s[10:11], v[168:169]
	v_fma_f64 v[52:53], v[188:189], s[8:9], v[168:169]
	v_fma_f64 v[168:169], v[207:208], s[8:9], v[96:97]
	v_fma_f64 v[96:97], v[207:208], s[10:11], v[96:97]
	v_fma_f64 v[126:127], v[72:73], s[8:9], v[92:93]
	v_fma_f64 v[92:93], v[72:73], s[10:11], v[92:93]
	v_fma_f64 v[70:71], v[146:147], s[4:5], v[70:71]
	v_fma_f64 v[44:45], v[205:206], s[2:3], v[44:45]
	v_fma_f64 v[124:125], v[72:73], s[2:3], v[124:125]
	v_fma_f64 v[72:73], v[72:73], s[4:5], v[134:135]
	v_fma_f64 v[134:135], v[215:216], s[8:9], v[247:248]
	v_fma_f64 v[247:248], v[215:216], s[10:11], v[247:248]
	v_fma_f64 v[84:85], v[102:103], s[4:5], v[84:85]
	v_fma_f64 v[102:103], v[102:103], s[2:3], v[180:181]
	v_fma_f64 v[180:181], v[88:89], s[0:1], v[58:59]
	scratch_load_b64 v[58:59], off, off offset:72 th:TH_LOAD_LU ; 8-byte Folded Reload
	v_fma_f64 v[148:149], v[32:33], s[4:5], v[148:149]
	v_fma_f64 v[198:199], v[32:33], s[2:3], v[174:175]
	scratch_store_b128 off, v[2:5], off offset:32 ; 16-byte Folded Spill
	v_add_f64_e32 v[2:3], v[18:19], v[12:13]
	v_fma_f64 v[12:13], v[108:109], s[8:9], v[213:214]
	v_add_f64_e32 v[4:5], v[50:51], v[48:49]
	v_fma_f64 v[48:49], v[80:81], s[10:11], v[227:228]
	v_fma_f64 v[50:51], v[80:81], s[8:9], v[227:228]
	;; [unrolled: 1-line block ×10, first 2 shown]
	v_add_f64_e64 v[211:212], v[100:101], -v[136:137]
	v_fma_f64 v[126:127], v[78:79], s[2:3], v[126:127]
	v_fma_f64 v[92:93], v[78:79], s[4:5], v[92:93]
	;; [unrolled: 1-line block ×5, first 2 shown]
	v_add_f64_e32 v[42:43], v[104:105], v[60:61]
	v_add_f64_e64 v[60:61], v[82:83], -v[120:121]
	v_fma_f64 v[217:218], v[207:208], s[2:3], v[30:31]
	v_fma_f64 v[30:31], v[26:27], s[10:11], v[241:242]
	;; [unrolled: 1-line block ×4, first 2 shown]
	v_add_f64_e64 v[241:242], v[136:137], -v[100:101]
	v_fma_f64 v[72:73], v[106:107], s[0:1], v[72:73]
	v_add_f64_e32 v[120:121], v[68:69], v[120:121]
	v_fma_f64 v[82:83], v[164:165], s[0:1], v[84:85]
	v_fma_f64 v[221:222], v[80:81], s[4:5], v[12:13]
	;; [unrolled: 1-line block ×8, first 2 shown]
	scratch_store_b128 off, v[2:5], off offset:48 ; 16-byte Folded Spill
	v_fma_f64 v[213:214], v[249:250], s[4:5], v[213:214]
	v_fma_f64 v[235:236], v[249:250], s[2:3], v[14:15]
	v_fma_f64 v[249:250], v[146:147], s[2:3], v[170:171]
	v_fma_f64 v[146:147], v[229:230], s[10:11], v[239:240]
	v_fma_f64 v[2:3], v[8:9], s[10:11], v[140:141]
	v_fma_f64 v[140:141], v[8:9], s[8:9], v[140:141]
	v_fma_f64 v[182:183], v[190:191], s[8:9], v[182:183]
	v_fma_f64 v[6:7], v[26:27], s[2:3], v[188:189]
	v_fma_f64 v[186:187], v[205:206], s[4:5], v[178:179]
	v_add_f64_e64 v[205:206], v[166:167], -v[154:155]
	v_fma_f64 v[24:25], v[26:27], s[4:5], v[90:91]
	v_fma_f64 v[14:15], v[88:89], s[0:1], v[64:65]
	;; [unrolled: 1-line block ×4, first 2 shown]
	v_add_f64_e32 v[124:125], v[223:224], v[201:202]
	v_fma_f64 v[128:129], v[209:210], s[2:3], v[130:131]
	v_fma_f64 v[196:197], v[28:29], s[2:3], v[30:31]
	;; [unrolled: 1-line block ×4, first 2 shown]
	v_add_f64_e32 v[40:41], v[40:41], v[241:242]
	v_fma_f64 v[207:208], v[28:29], s[4:5], v[207:208]
	v_fma_f64 v[28:29], v[162:163], s[0:1], v[217:218]
	;; [unrolled: 1-line block ×20, first 2 shown]
	v_mul_hi_u32 v0, 0x5397829d, v255
	v_fma_f64 v[36:37], v[36:37], s[2:3], v[132:133]
	v_add_f64_e32 v[132:133], v[194:195], v[211:212]
	v_fma_f64 v[140:141], v[110:111], s[4:5], v[140:141]
	v_fma_f64 v[20:21], v[20:21], s[2:3], v[182:183]
	v_fma_f64 v[144:145], v[110:111], s[2:3], v[2:3]
	v_fma_f64 v[2:3], v[164:165], s[0:1], v[102:103]
	v_add_f64_e32 v[102:103], v[112:113], v[22:23]
	v_lshrrev_b32_e32 v22, 7, v0
	v_fma_f64 v[92:93], v[233:234], s[0:1], v[6:7]
	v_fma_f64 v[74:75], v[245:246], s[0:1], v[235:236]
	;; [unrolled: 1-line block ×3, first 2 shown]
	v_add_f64_e32 v[138:139], v[160:161], v[205:206]
	v_mul_u32_u24_e32 v6, 0x188, v22
	v_fma_f64 v[18:19], v[142:143], s[0:1], v[46:47]
	v_fma_f64 v[130:131], v[124:125], s[0:1], v[128:129]
	v_add_f64_e32 v[142:143], v[166:167], v[56:57]
	v_fma_f64 v[96:97], v[233:234], s[0:1], v[24:25]
	v_fma_f64 v[46:47], v[219:220], s[0:1], v[48:49]
	;; [unrolled: 1-line block ×6, first 2 shown]
	v_add_f64_e32 v[70:71], v[203:204], v[243:244]
	v_fma_f64 v[0:1], v[225:226], s[0:1], v[207:208]
	v_fma_f64 v[62:63], v[215:216], s[4:5], v[239:240]
	;; [unrolled: 1-line block ×6, first 2 shown]
	v_sub_nc_u32_e32 v26, v255, v6
	v_fma_f64 v[66:67], v[245:246], s[0:1], v[213:214]
	v_fma_f64 v[32:33], v[162:163], s[0:1], v[52:53]
	;; [unrolled: 1-line block ×4, first 2 shown]
	v_mad_co_u64_u32 v[6:7], null, s16, v26, 0
	v_add_nc_u32_e32 v24, 0x310, v26
	v_add_nc_u32_e32 v27, 0x498, v26
	v_fma_f64 v[152:153], v[152:153], s[0:1], v[158:159]
	v_fma_f64 v[128:129], v[132:133], s[0:1], v[140:141]
	;; [unrolled: 1-line block ×3, first 2 shown]
	v_lshlrev_b64_e32 v[20:21], 4, v[86:87]
	v_fma_f64 v[124:125], v[132:133], s[0:1], v[144:145]
	s_delay_alu instid0(VALU_DEP_2) | instskip(SKIP_1) | instid1(VALU_DEP_3)
	v_add_co_u32 v20, vcc_lo, s6, v20
	s_wait_alu 0xfffd
	v_add_co_ci_u32_e32 v21, vcc_lo, s7, v21, vcc_lo
	v_fma_f64 v[134:135], v[138:139], s[0:1], v[134:135]
	v_fma_f64 v[138:139], v[138:139], s[0:1], v[36:37]
	v_add_nc_u32_e32 v36, 56, v255
	s_delay_alu instid0(VALU_DEP_1) | instskip(SKIP_1) | instid1(VALU_DEP_2)
	v_mul_hi_u32 v25, 0x5397829d, v36
	v_fma_f64 v[112:113], v[70:71], s[0:1], v[76:77]
	v_lshrrev_b32_e32 v37, 7, v25
	s_wait_loadcnt 0x1
	v_fma_f64 v[4:5], v[110:111], s[10:11], v[98:99]
	v_fma_f64 v[84:85], v[110:111], s[8:9], v[98:99]
	;; [unrolled: 1-line block ×3, first 2 shown]
	v_add_f64_e32 v[122:123], v[116:117], v[42:43]
	v_fma_f64 v[116:117], v[70:71], s[0:1], v[88:89]
	v_fma_f64 v[98:99], v[184:185], s[0:1], v[198:199]
	s_wait_loadcnt 0x0
	v_add_f64_e32 v[58:59], v[58:59], v[60:61]
	v_fma_f64 v[60:61], v[215:216], s[2:3], v[146:147]
	v_add_f64_e32 v[146:147], v[251:252], v[100:101]
	v_fma_f64 v[4:5], v[8:9], s[4:5], v[4:5]
	;; [unrolled: 2-line block ×3, first 2 shown]
	v_mad_co_u64_u32 v[10:11], null, s17, v26, v[7:8]
	v_fma_f64 v[8:9], v[8:9], s[2:3], v[84:85]
	v_add_nc_u32_e32 v11, 0x188, v26
	s_delay_alu instid0(VALU_DEP_1) | instskip(NEXT) | instid1(VALU_DEP_1)
	v_mad_co_u64_u32 v[22:23], null, s16, v11, 0
	v_dual_mov_b32 v7, v10 :: v_dual_mov_b32 v10, v23
	v_fma_f64 v[108:109], v[58:59], s[0:1], v[62:63]
	v_fma_f64 v[104:105], v[58:59], s[0:1], v[60:61]
	v_add_f64_e32 v[140:141], v[146:147], v[136:137]
	v_fma_f64 v[136:137], v[40:41], s[0:1], v[4:5]
	v_lshlrev_b64_e32 v[4:5], 4, v[176:177]
	v_fma_f64 v[132:133], v[40:41], s[0:1], v[8:9]
	s_delay_alu instid0(VALU_DEP_2) | instskip(SKIP_1) | instid1(VALU_DEP_3)
	v_add_co_u32 v84, vcc_lo, v20, v4
	s_wait_alu 0xfffd
	v_add_co_ci_u32_e32 v85, vcc_lo, v21, v5, vcc_lo
	v_lshlrev_b64_e32 v[4:5], 4, v[6:7]
	v_mad_co_u64_u32 v[6:7], null, s17, v11, v[10:11]
	v_mad_co_u64_u32 v[10:11], null, s16, v24, 0
	;; [unrolled: 1-line block ×3, first 2 shown]
	s_delay_alu instid0(VALU_DEP_4) | instskip(NEXT) | instid1(VALU_DEP_4)
	v_add_co_u32 v4, vcc_lo, v84, v4
	v_mov_b32_e32 v23, v6
	s_wait_alu 0xfffd
	v_add_co_ci_u32_e32 v5, vcc_lo, v85, v5, vcc_lo
	s_delay_alu instid0(VALU_DEP_4) | instskip(NEXT) | instid1(VALU_DEP_1)
	v_dual_mov_b32 v7, v11 :: v_dual_mov_b32 v6, v21
	v_mad_co_u64_u32 v[24:25], null, s17, v24, v[7:8]
	s_delay_alu instid0(VALU_DEP_2) | instskip(SKIP_1) | instid1(VALU_DEP_3)
	v_mad_co_u64_u32 v[6:7], null, s17, v27, v[6:7]
	v_mul_u32_u24_e32 v7, 0x188, v37
	v_mov_b32_e32 v11, v24
	s_delay_alu instid0(VALU_DEP_2)
	v_sub_nc_u32_e32 v8, v36, v7
	global_store_b128 v[4:5], v[140:143], off
	v_lshlrev_b64_e32 v[4:5], 4, v[22:23]
	v_dual_mov_b32 v21, v6 :: v_dual_add_nc_u32 v22, 0x620, v26
	v_mad_u32_u24 v25, 0x7a8, v37, v8
	v_lshlrev_b64_e32 v[8:9], 4, v[10:11]
	s_delay_alu instid0(VALU_DEP_3)
	v_mad_co_u64_u32 v[6:7], null, s16, v22, 0
	v_add_co_u32 v4, vcc_lo, v84, v4
	s_wait_alu 0xfffd
	v_add_co_ci_u32_e32 v5, vcc_lo, v85, v5, vcc_lo
	v_lshlrev_b64_e32 v[10:11], 4, v[20:21]
	v_mad_co_u64_u32 v[20:21], null, s16, v25, 0
	v_add_co_u32 v8, vcc_lo, v84, v8
	s_wait_alu 0xfffd
	v_add_co_ci_u32_e32 v9, vcc_lo, v85, v9, vcc_lo
	s_delay_alu instid0(VALU_DEP_4) | instskip(NEXT) | instid1(VALU_DEP_3)
	v_add_co_u32 v10, vcc_lo, v84, v10
	v_mad_co_u64_u32 v[22:23], null, s17, v22, v[7:8]
	v_mov_b32_e32 v7, v21
	s_wait_alu 0xfffd
	v_add_co_ci_u32_e32 v11, vcc_lo, v85, v11, vcc_lo
	s_clause 0x2
	global_store_b128 v[4:5], v[136:139], off
	global_store_b128 v[8:9], v[128:131], off
	;; [unrolled: 1-line block ×3, first 2 shown]
	v_mad_co_u64_u32 v[23:24], null, s17, v25, v[7:8]
	v_dual_mov_b32 v7, v22 :: v_dual_add_nc_u32 v22, 0x188, v25
	v_add_nc_u32_e32 v24, 0x310, v25
	s_delay_alu instid0(VALU_DEP_2) | instskip(NEXT) | instid1(VALU_DEP_3)
	v_lshlrev_b64_e32 v[4:5], 4, v[6:7]
	v_mad_co_u64_u32 v[6:7], null, s16, v22, 0
	s_delay_alu instid0(VALU_DEP_3) | instskip(SKIP_1) | instid1(VALU_DEP_4)
	v_mad_co_u64_u32 v[8:9], null, s16, v24, 0
	v_mov_b32_e32 v21, v23
	v_add_co_u32 v4, vcc_lo, v84, v4
	s_wait_alu 0xfffd
	v_add_co_ci_u32_e32 v5, vcc_lo, v85, v5, vcc_lo
	s_delay_alu instid0(VALU_DEP_3)
	v_lshlrev_b64_e32 v[10:11], 4, v[20:21]
	v_mad_co_u64_u32 v[20:21], null, s17, v22, v[7:8]
	global_store_b128 v[4:5], v[132:135], off
	v_mov_b32_e32 v7, v20
	v_mad_co_u64_u32 v[21:22], null, s17, v24, v[9:10]
	v_add_nc_u32_e32 v26, 0x70, v255
	v_add_nc_u32_e32 v24, 0x498, v25
	v_add_co_u32 v10, vcc_lo, v84, v10
	s_wait_alu 0xfffd
	v_add_co_ci_u32_e32 v11, vcc_lo, v85, v11, vcc_lo
	v_mov_b32_e32 v9, v21
	v_mul_hi_u32 v23, 0x5397829d, v26
	v_lshlrev_b64_e32 v[4:5], 4, v[6:7]
	global_store_b128 v[10:11], v[120:123], off
	v_add_nc_u32_e32 v25, 0x620, v25
	v_lshlrev_b64_e32 v[7:8], 4, v[8:9]
	v_add_co_u32 v4, vcc_lo, v84, v4
	v_lshrrev_b32_e32 v27, 7, v23
	v_mad_co_u64_u32 v[22:23], null, s16, v24, 0
	s_wait_alu 0xfffd
	v_add_co_ci_u32_e32 v5, vcc_lo, v85, v5, vcc_lo
	s_delay_alu instid0(VALU_DEP_3) | instskip(SKIP_3) | instid1(VALU_DEP_1)
	v_mul_u32_u24_e32 v36, 0x188, v27
	global_store_b128 v[4:5], v[116:119], off
	v_mov_b32_e32 v6, v23
	v_sub_nc_u32_e32 v10, v26, v36
	v_mad_u32_u24 v27, 0x7a8, v27, v10
	s_delay_alu instid0(VALU_DEP_3) | instskip(SKIP_1) | instid1(VALU_DEP_3)
	v_mad_co_u64_u32 v[9:10], null, s17, v24, v[6:7]
	v_mad_co_u64_u32 v[10:11], null, s16, v25, 0
	;; [unrolled: 1-line block ×3, first 2 shown]
	v_add_co_u32 v7, vcc_lo, v84, v7
	s_delay_alu instid0(VALU_DEP_4) | instskip(SKIP_2) | instid1(VALU_DEP_4)
	v_mov_b32_e32 v23, v9
	s_wait_alu 0xfffd
	v_add_co_ci_u32_e32 v8, vcc_lo, v85, v8, vcc_lo
	v_dual_mov_b32 v6, v11 :: v_dual_mov_b32 v9, v21
	s_delay_alu instid0(VALU_DEP_3)
	v_lshlrev_b64_e32 v[21:22], 4, v[22:23]
	global_store_b128 v[7:8], v[108:111], off
	v_mad_co_u64_u32 v[23:24], null, s17, v25, v[6:7]
	v_mad_co_u64_u32 v[24:25], null, s17, v27, v[9:10]
	v_add_nc_u32_e32 v9, 0x188, v27
	v_add_co_u32 v25, vcc_lo, v84, v21
	s_wait_alu 0xfffd
	v_add_co_ci_u32_e32 v26, vcc_lo, v85, v22, vcc_lo
	s_delay_alu instid0(VALU_DEP_3)
	v_mad_co_u64_u32 v[36:37], null, s16, v9, 0
	v_dual_mov_b32 v21, v24 :: v_dual_add_nc_u32 v24, 0x498, v27
	v_dual_mov_b32 v11, v23 :: v_dual_add_nc_u32 v22, 0xa8, v255
	global_store_b128 v[25:26], v[104:107], off
	v_lshlrev_b64_e32 v[7:8], 4, v[20:21]
	v_add_nc_u32_e32 v20, 0x310, v27
	v_mov_b32_e32 v6, v37
	v_mul_hi_u32 v21, 0x5397829d, v22
	v_lshlrev_b64_e32 v[4:5], 4, v[10:11]
	v_add_nc_u32_e32 v26, 0x620, v27
	s_delay_alu instid0(VALU_DEP_4) | instskip(SKIP_1) | instid1(VALU_DEP_4)
	v_mad_co_u64_u32 v[9:10], null, s17, v9, v[6:7]
	v_mad_co_u64_u32 v[10:11], null, s16, v20, 0
	v_add_co_u32 v4, vcc_lo, v84, v4
	v_lshrrev_b32_e32 v23, 7, v21
	s_wait_alu 0xfffd
	v_add_co_ci_u32_e32 v5, vcc_lo, v85, v5, vcc_lo
	v_add_co_u32 v6, vcc_lo, v84, v7
	s_wait_alu 0xfffd
	v_add_co_ci_u32_e32 v7, vcc_lo, v85, v8, vcc_lo
	v_mov_b32_e32 v8, v11
	v_mul_u32_u24_e32 v11, 0x188, v23
	v_mov_b32_e32 v37, v9
	s_clause 0x1
	global_store_b128 v[4:5], v[112:115], off
	global_store_b128 v[6:7], v[100:103], off
	v_mad_co_u64_u32 v[8:9], null, s17, v20, v[8:9]
	v_sub_nc_u32_e32 v9, v22, v11
	v_mad_co_u64_u32 v[20:21], null, s16, v24, 0
	v_lshlrev_b64_e32 v[4:5], 4, v[36:37]
	s_delay_alu instid0(VALU_DEP_3) | instskip(SKIP_3) | instid1(VALU_DEP_4)
	v_mad_u32_u24 v27, 0x7a8, v23, v9
	v_mov_b32_e32 v11, v8
	v_mad_co_u64_u32 v[7:8], null, s16, v26, 0
	v_mov_b32_e32 v6, v21
	v_mad_co_u64_u32 v[22:23], null, s16, v27, 0
	v_add_co_u32 v4, vcc_lo, v84, v4
	s_wait_alu 0xfffd
	v_add_co_ci_u32_e32 v5, vcc_lo, v85, v5, vcc_lo
	v_mad_co_u64_u32 v[24:25], null, s17, v24, v[6:7]
	v_mov_b32_e32 v6, v8
	v_lshlrev_b64_e32 v[8:9], 4, v[10:11]
	v_mov_b32_e32 v10, v23
	global_store_b128 v[4:5], v[96:99], off
	v_add_nc_u32_e32 v25, 0x498, v27
	v_mov_b32_e32 v21, v24
	v_mad_co_u64_u32 v[23:24], null, s17, v26, v[6:7]
	v_mad_co_u64_u32 v[10:11], null, s17, v27, v[10:11]
	v_add_nc_u32_e32 v11, 0x188, v27
	v_add_co_u32 v8, vcc_lo, v84, v8
	s_wait_alu 0xfffd
	v_add_co_ci_u32_e32 v9, vcc_lo, v85, v9, vcc_lo
	v_lshlrev_b64_e32 v[4:5], 4, v[20:21]
	v_mad_co_u64_u32 v[20:21], null, s16, v11, 0
	global_store_b128 v[8:9], v[0:3], off
	v_dual_mov_b32 v8, v23 :: v_dual_mov_b32 v23, v10
	v_add_co_u32 v0, vcc_lo, v84, v4
	s_wait_alu 0xfffd
	v_add_co_ci_u32_e32 v1, vcc_lo, v85, v5, vcc_lo
	s_delay_alu instid0(VALU_DEP_3) | instskip(SKIP_3) | instid1(VALU_DEP_3)
	v_lshlrev_b64_e32 v[3:4], 4, v[7:8]
	v_mov_b32_e32 v2, v21
	v_add_nc_u32_e32 v10, 0x310, v27
	v_lshlrev_b64_e32 v[5:6], 4, v[22:23]
	v_mad_co_u64_u32 v[7:8], null, s17, v11, v[2:3]
	v_add_co_u32 v2, vcc_lo, v84, v3
	s_wait_alu 0xfffd
	v_add_co_ci_u32_e32 v3, vcc_lo, v85, v4, vcc_lo
	s_clause 0x1
	global_store_b128 v[0:1], v[80:83], off
	global_store_b128 v[2:3], v[92:95], off
	scratch_load_b128 v[0:3], off, off offset:48 th:TH_LOAD_LU ; 16-byte Folded Reload
	v_mad_co_u64_u32 v[8:9], null, s16, v10, 0
	v_add_co_u32 v4, vcc_lo, v84, v5
	s_wait_alu 0xfffd
	v_add_co_ci_u32_e32 v5, vcc_lo, v85, v6, vcc_lo
	s_delay_alu instid0(VALU_DEP_3) | instskip(NEXT) | instid1(VALU_DEP_1)
	v_dual_mov_b32 v21, v7 :: v_dual_mov_b32 v6, v9
	v_mad_co_u64_u32 v[6:7], null, s17, v10, v[6:7]
	v_mad_co_u64_u32 v[10:11], null, s16, v25, 0
	v_add_nc_u32_e32 v7, 0x620, v27
	s_wait_loadcnt 0x0
	global_store_b128 v[4:5], v[0:3], off
	v_mov_b32_e32 v2, v11
	v_mad_co_u64_u32 v[22:23], null, s16, v7, 0
	v_add_nc_u32_e32 v24, 0xe0, v255
	v_lshlrev_b64_e32 v[0:1], 4, v[20:21]
	s_delay_alu instid0(VALU_DEP_3) | instskip(NEXT) | instid1(VALU_DEP_3)
	v_mov_b32_e32 v3, v23
	v_mul_hi_u32 v9, 0x5397829d, v24
	s_delay_alu instid0(VALU_DEP_3) | instskip(SKIP_1) | instid1(VALU_DEP_4)
	v_add_co_u32 v0, vcc_lo, v84, v0
	s_wait_alu 0xfffd
	v_add_co_ci_u32_e32 v1, vcc_lo, v85, v1, vcc_lo
	v_mad_co_u64_u32 v[4:5], null, s17, v25, v[2:3]
	s_delay_alu instid0(VALU_DEP_4) | instskip(SKIP_1) | instid1(VALU_DEP_2)
	v_lshrrev_b32_e32 v26, 7, v9
	v_mov_b32_e32 v9, v6
	v_mul_u32_u24_e32 v6, 0x188, v26
	s_delay_alu instid0(VALU_DEP_4) | instskip(NEXT) | instid1(VALU_DEP_2)
	v_mad_co_u64_u32 v[2:3], null, s17, v7, v[3:4]
	v_sub_nc_u32_e32 v3, v24, v6
	s_delay_alu instid0(VALU_DEP_4) | instskip(NEXT) | instid1(VALU_DEP_2)
	v_lshlrev_b64_e32 v[5:6], 4, v[8:9]
	v_mad_u32_u24 v24, 0x7a8, v26, v3
	v_mov_b32_e32 v11, v4
	s_delay_alu instid0(VALU_DEP_3) | instskip(SKIP_1) | instid1(VALU_DEP_4)
	v_add_co_u32 v4, vcc_lo, v84, v5
	v_mov_b32_e32 v23, v2
	v_add_nc_u32_e32 v25, 0x188, v24
	v_mad_co_u64_u32 v[2:3], null, s16, v24, 0
	s_wait_alu 0xfffd
	v_add_co_ci_u32_e32 v5, vcc_lo, v85, v6, vcc_lo
	v_lshlrev_b64_e32 v[6:7], 4, v[10:11]
	v_mad_co_u64_u32 v[10:11], null, s16, v25, 0
	v_lshlrev_b64_e32 v[8:9], 4, v[22:23]
	v_mad_co_u64_u32 v[20:21], null, s17, v24, v[3:4]
	s_delay_alu instid0(VALU_DEP_4)
	v_add_co_u32 v6, vcc_lo, v84, v6
	s_wait_alu 0xfffd
	v_add_co_ci_u32_e32 v7, vcc_lo, v85, v7, vcc_lo
	v_mov_b32_e32 v3, v11
	v_add_co_u32 v8, vcc_lo, v84, v8
	s_wait_alu 0xfffd
	v_add_co_ci_u32_e32 v9, vcc_lo, v85, v9, vcc_lo
	s_delay_alu instid0(VALU_DEP_3)
	v_mad_co_u64_u32 v[21:22], null, s17, v25, v[3:4]
	v_add_nc_u32_e32 v22, 0x118, v255
	s_clause 0x3
	global_store_b128 v[0:1], v[217:220], off
	global_store_b128 v[4:5], v[72:75], off
	;; [unrolled: 1-line block ×4, first 2 shown]
	v_dual_mov_b32 v3, v20 :: v_dual_add_nc_u32 v8, 0x310, v24
	v_add_nc_u32_e32 v20, 0x498, v24
	v_mul_hi_u32 v9, 0x5397829d, v22
	v_mov_b32_e32 v11, v21
	s_delay_alu instid0(VALU_DEP_4) | instskip(SKIP_2) | instid1(VALU_DEP_4)
	v_lshlrev_b64_e32 v[0:1], 4, v[2:3]
	v_mad_co_u64_u32 v[2:3], null, s16, v8, 0
	v_mad_co_u64_u32 v[4:5], null, s16, v20, 0
	v_lshlrev_b64_e32 v[6:7], 4, v[10:11]
	v_lshrrev_b32_e32 v23, 7, v9
	v_add_co_u32 v0, vcc_lo, v84, v0
	v_add_nc_u32_e32 v11, 0x620, v24
	s_wait_alu 0xfffd
	v_add_co_ci_u32_e32 v1, vcc_lo, v85, v1, vcc_lo
	v_mul_u32_u24_e32 v24, 0x188, v23
	v_mad_co_u64_u32 v[8:9], null, s17, v8, v[3:4]
	v_mov_b32_e32 v3, v5
	v_add_co_u32 v5, vcc_lo, v84, v6
	s_wait_alu 0xfffd
	v_add_co_ci_u32_e32 v6, vcc_lo, v85, v7, vcc_lo
	v_sub_nc_u32_e32 v7, v22, v24
	scratch_load_b128 v[24:27], off, off offset:32 th:TH_LOAD_LU ; 16-byte Folded Reload
	v_mad_co_u64_u32 v[9:10], null, s16, v11, 0
	v_mad_co_u64_u32 v[20:21], null, s17, v20, v[3:4]
	v_mov_b32_e32 v3, v8
	v_mad_u32_u24 v21, 0x7a8, v23, v7
	v_add_nc_u32_e32 v22, 0x150, v255
	s_wait_loadcnt 0x0
	s_clause 0x1
	global_store_b128 v[0:1], v[24:27], off
	global_store_b128 v[5:6], v[172:175], off
	v_lshlrev_b64_e32 v[1:2], 4, v[2:3]
	v_dual_mov_b32 v0, v10 :: v_dual_mov_b32 v5, v20
	v_add_nc_u32_e32 v20, 0x188, v21
	s_delay_alu instid0(VALU_DEP_2)
	v_mad_co_u64_u32 v[6:7], null, s17, v11, v[0:1]
	v_add_co_u32 v0, vcc_lo, v84, v1
	s_wait_alu 0xfffd
	v_add_co_ci_u32_e32 v1, vcc_lo, v85, v2, vcc_lo
	v_lshlrev_b64_e32 v[2:3], 4, v[4:5]
	v_mad_co_u64_u32 v[7:8], null, s16, v21, 0
	v_mov_b32_e32 v10, v6
	v_mad_co_u64_u32 v[5:6], null, s16, v20, 0
	s_delay_alu instid0(VALU_DEP_4)
	v_add_co_u32 v2, vcc_lo, v84, v2
	s_wait_alu 0xfffd
	v_add_co_ci_u32_e32 v3, vcc_lo, v85, v3, vcc_lo
	s_clause 0x1
	global_store_b128 v[0:1], v[52:55], off
	global_store_b128 v[2:3], v[48:51], off
	scratch_load_b128 v[23:26], off, off offset:16 th:TH_LOAD_LU ; 16-byte Folded Reload
	v_mov_b32_e32 v4, v8
	v_lshlrev_b64_e32 v[8:9], 4, v[9:10]
	v_mov_b32_e32 v0, v6
	s_delay_alu instid0(VALU_DEP_3) | instskip(NEXT) | instid1(VALU_DEP_3)
	v_mad_co_u64_u32 v[10:11], null, s17, v21, v[4:5]
	v_add_co_u32 v1, vcc_lo, v84, v8
	s_wait_alu 0xfffd
	s_delay_alu instid0(VALU_DEP_4) | instskip(NEXT) | instid1(VALU_DEP_2)
	v_add_co_ci_u32_e32 v2, vcc_lo, v85, v9, vcc_lo
	v_mad_co_u64_u32 v[3:4], null, s17, v20, v[0:1]
	v_add_nc_u32_e32 v20, 0x498, v21
	v_dual_mov_b32 v8, v10 :: v_dual_add_nc_u32 v11, 0x310, v21
	global_store_b128 v[1:2], v[44:47], off
	v_mad_co_u64_u32 v[9:10], null, s16, v20, 0
	v_mov_b32_e32 v6, v3
	v_lshlrev_b64_e32 v[0:1], 4, v[7:8]
	v_mad_co_u64_u32 v[7:8], null, s16, v11, 0
	s_delay_alu instid0(VALU_DEP_3) | instskip(SKIP_1) | instid1(VALU_DEP_4)
	v_lshlrev_b64_e32 v[3:4], 4, v[5:6]
	v_mov_b32_e32 v5, v10
	v_add_co_u32 v0, vcc_lo, v84, v0
	s_wait_alu 0xfffd
	v_add_co_ci_u32_e32 v1, vcc_lo, v85, v1, vcc_lo
	v_mov_b32_e32 v2, v8
	v_mad_co_u64_u32 v[5:6], null, s17, v20, v[5:6]
	v_mul_hi_u32 v6, 0x5397829d, v22
	s_delay_alu instid0(VALU_DEP_3) | instskip(SKIP_4) | instid1(VALU_DEP_4)
	v_mad_co_u64_u32 v[10:11], null, s17, v11, v[2:3]
	v_add_nc_u32_e32 v11, 0x620, v21
	v_add_co_u32 v2, vcc_lo, v84, v3
	s_wait_alu 0xfffd
	v_add_co_ci_u32_e32 v3, vcc_lo, v85, v4, vcc_lo
	v_mov_b32_e32 v8, v10
	v_mad_co_u64_u32 v[20:21], null, s16, v11, 0
	v_mov_b32_e32 v10, v5
	s_wait_loadcnt 0x0
	global_store_b128 v[0:1], v[23:26], off
	v_lshrrev_b32_e32 v23, 7, v6
	global_store_b128 v[2:3], v[150:153], off
	v_lshlrev_b64_e32 v[1:2], 4, v[7:8]
	v_mov_b32_e32 v0, v21
	v_mul_u32_u24_e32 v21, 0x188, v23
	s_delay_alu instid0(VALU_DEP_2) | instskip(NEXT) | instid1(VALU_DEP_2)
	v_mad_co_u64_u32 v[5:6], null, s17, v11, v[0:1]
	v_sub_nc_u32_e32 v6, v22, v21
	v_add_co_u32 v0, vcc_lo, v84, v1
	s_wait_alu 0xfffd
	v_add_co_ci_u32_e32 v1, vcc_lo, v85, v2, vcc_lo
	s_delay_alu instid0(VALU_DEP_3)
	v_mad_u32_u24 v22, 0x7a8, v23, v6
	v_mov_b32_e32 v21, v5
	global_store_b128 v[0:1], v[32:35], off
	v_add_nc_u32_e32 v23, 0x498, v22
	v_lshlrev_b64_e32 v[3:4], 4, v[9:10]
	v_lshlrev_b64_e32 v[0:1], 4, v[20:21]
	v_add_nc_u32_e32 v20, 0x310, v22
	s_delay_alu instid0(VALU_DEP_3) | instskip(SKIP_1) | instid1(VALU_DEP_4)
	v_add_co_u32 v2, vcc_lo, v84, v3
	s_wait_alu 0xfffd
	v_add_co_ci_u32_e32 v3, vcc_lo, v85, v4, vcc_lo
	v_mad_co_u64_u32 v[4:5], null, s16, v22, 0
	v_mad_co_u64_u32 v[6:7], null, s16, v20, 0
	global_store_b128 v[2:3], v[28:31], off
	v_add_co_u32 v0, vcc_lo, v84, v0
	s_wait_alu 0xfffd
	v_add_co_ci_u32_e32 v1, vcc_lo, v85, v1, vcc_lo
	v_mad_co_u64_u32 v[8:9], null, s17, v22, v[5:6]
	v_add_nc_u32_e32 v10, 0x188, v22
	global_store_b128 v[0:1], v[168:171], off
	v_mov_b32_e32 v5, v8
	v_mad_co_u64_u32 v[2:3], null, s16, v10, 0
	s_delay_alu instid0(VALU_DEP_1) | instskip(SKIP_2) | instid1(VALU_DEP_2)
	v_mad_co_u64_u32 v[9:10], null, s17, v10, v[3:4]
	v_mov_b32_e32 v3, v7
	v_mad_co_u64_u32 v[10:11], null, s16, v23, 0
	v_mad_co_u64_u32 v[20:21], null, s17, v20, v[3:4]
	s_delay_alu instid0(VALU_DEP_4) | instskip(SKIP_1) | instid1(VALU_DEP_3)
	v_dual_mov_b32 v3, v9 :: v_dual_add_nc_u32 v24, 0x620, v22
	v_lshlrev_b64_e32 v[4:5], 4, v[4:5]
	v_mov_b32_e32 v7, v20
	s_delay_alu instid0(VALU_DEP_3)
	v_mad_co_u64_u32 v[21:22], null, s16, v24, 0
	v_mov_b32_e32 v0, v11
	v_lshlrev_b64_e32 v[2:3], 4, v[2:3]
	v_add_co_u32 v4, vcc_lo, v84, v4
	s_wait_alu 0xfffd
	v_add_co_ci_u32_e32 v5, vcc_lo, v85, v5, vcc_lo
	v_mad_co_u64_u32 v[0:1], null, s17, v23, v[0:1]
	v_mov_b32_e32 v1, v22
	v_lshlrev_b64_e32 v[6:7], 4, v[6:7]
	s_delay_alu instid0(VALU_DEP_2) | instskip(NEXT) | instid1(VALU_DEP_4)
	v_mad_co_u64_u32 v[8:9], null, s17, v24, v[1:2]
	v_mov_b32_e32 v11, v0
	v_add_co_u32 v0, vcc_lo, v84, v2
	s_wait_alu 0xfffd
	v_add_co_ci_u32_e32 v1, vcc_lo, v85, v3, vcc_lo
	v_add_co_u32 v6, vcc_lo, v84, v6
	v_mov_b32_e32 v22, v8
	v_lshlrev_b64_e32 v[2:3], 4, v[10:11]
	s_wait_alu 0xfffd
	v_add_co_ci_u32_e32 v7, vcc_lo, v85, v7, vcc_lo
	s_delay_alu instid0(VALU_DEP_3)
	v_lshlrev_b64_e32 v[8:9], 4, v[21:22]
	scratch_load_b128 v[20:23], off, off th:TH_LOAD_LU ; 16-byte Folded Reload
	v_add_co_u32 v2, vcc_lo, v84, v2
	s_wait_alu 0xfffd
	v_add_co_ci_u32_e32 v3, vcc_lo, v85, v3, vcc_lo
	v_add_co_u32 v8, vcc_lo, v84, v8
	s_wait_alu 0xfffd
	v_add_co_ci_u32_e32 v9, vcc_lo, v85, v9, vcc_lo
	s_wait_loadcnt 0x0
	s_clause 0x4
	global_store_b128 v[4:5], v[20:23], off
	global_store_b128 v[0:1], v[16:19], off
	;; [unrolled: 1-line block ×5, first 2 shown]
.LBB0_29:
	s_endpgm
	.section	.rodata,"a",@progbits
	.p2align	6, 0x0
	.amdhsa_kernel fft_rtc_back_len1960_factors_4_7_2_7_5_wgs_56_tpt_56_halfLds_dp_op_CI_CI_sbrr_dirReg
		.amdhsa_group_segment_fixed_size 0
		.amdhsa_private_segment_fixed_size 160
		.amdhsa_kernarg_size 104
		.amdhsa_user_sgpr_count 2
		.amdhsa_user_sgpr_dispatch_ptr 0
		.amdhsa_user_sgpr_queue_ptr 0
		.amdhsa_user_sgpr_kernarg_segment_ptr 1
		.amdhsa_user_sgpr_dispatch_id 0
		.amdhsa_user_sgpr_private_segment_size 0
		.amdhsa_wavefront_size32 1
		.amdhsa_uses_dynamic_stack 0
		.amdhsa_enable_private_segment 1
		.amdhsa_system_sgpr_workgroup_id_x 1
		.amdhsa_system_sgpr_workgroup_id_y 0
		.amdhsa_system_sgpr_workgroup_id_z 0
		.amdhsa_system_sgpr_workgroup_info 0
		.amdhsa_system_vgpr_workitem_id 0
		.amdhsa_next_free_vgpr 256
		.amdhsa_next_free_sgpr 43
		.amdhsa_reserve_vcc 1
		.amdhsa_float_round_mode_32 0
		.amdhsa_float_round_mode_16_64 0
		.amdhsa_float_denorm_mode_32 3
		.amdhsa_float_denorm_mode_16_64 3
		.amdhsa_fp16_overflow 0
		.amdhsa_workgroup_processor_mode 1
		.amdhsa_memory_ordered 1
		.amdhsa_forward_progress 0
		.amdhsa_round_robin_scheduling 0
		.amdhsa_exception_fp_ieee_invalid_op 0
		.amdhsa_exception_fp_denorm_src 0
		.amdhsa_exception_fp_ieee_div_zero 0
		.amdhsa_exception_fp_ieee_overflow 0
		.amdhsa_exception_fp_ieee_underflow 0
		.amdhsa_exception_fp_ieee_inexact 0
		.amdhsa_exception_int_div_zero 0
	.end_amdhsa_kernel
	.text
.Lfunc_end0:
	.size	fft_rtc_back_len1960_factors_4_7_2_7_5_wgs_56_tpt_56_halfLds_dp_op_CI_CI_sbrr_dirReg, .Lfunc_end0-fft_rtc_back_len1960_factors_4_7_2_7_5_wgs_56_tpt_56_halfLds_dp_op_CI_CI_sbrr_dirReg
                                        ; -- End function
	.section	.AMDGPU.csdata,"",@progbits
; Kernel info:
; codeLenInByte = 28228
; NumSgprs: 45
; NumVgprs: 256
; ScratchSize: 160
; MemoryBound: 1
; FloatMode: 240
; IeeeMode: 1
; LDSByteSize: 0 bytes/workgroup (compile time only)
; SGPRBlocks: 5
; VGPRBlocks: 31
; NumSGPRsForWavesPerEU: 45
; NumVGPRsForWavesPerEU: 256
; Occupancy: 5
; WaveLimiterHint : 1
; COMPUTE_PGM_RSRC2:SCRATCH_EN: 1
; COMPUTE_PGM_RSRC2:USER_SGPR: 2
; COMPUTE_PGM_RSRC2:TRAP_HANDLER: 0
; COMPUTE_PGM_RSRC2:TGID_X_EN: 1
; COMPUTE_PGM_RSRC2:TGID_Y_EN: 0
; COMPUTE_PGM_RSRC2:TGID_Z_EN: 0
; COMPUTE_PGM_RSRC2:TIDIG_COMP_CNT: 0
	.text
	.p2alignl 7, 3214868480
	.fill 96, 4, 3214868480
	.type	__hip_cuid_3df6598b97e36a97,@object ; @__hip_cuid_3df6598b97e36a97
	.section	.bss,"aw",@nobits
	.globl	__hip_cuid_3df6598b97e36a97
__hip_cuid_3df6598b97e36a97:
	.byte	0                               ; 0x0
	.size	__hip_cuid_3df6598b97e36a97, 1

	.ident	"AMD clang version 19.0.0git (https://github.com/RadeonOpenCompute/llvm-project roc-6.4.0 25133 c7fe45cf4b819c5991fe208aaa96edf142730f1d)"
	.section	".note.GNU-stack","",@progbits
	.addrsig
	.addrsig_sym __hip_cuid_3df6598b97e36a97
	.amdgpu_metadata
---
amdhsa.kernels:
  - .args:
      - .actual_access:  read_only
        .address_space:  global
        .offset:         0
        .size:           8
        .value_kind:     global_buffer
      - .offset:         8
        .size:           8
        .value_kind:     by_value
      - .actual_access:  read_only
        .address_space:  global
        .offset:         16
        .size:           8
        .value_kind:     global_buffer
      - .actual_access:  read_only
        .address_space:  global
        .offset:         24
        .size:           8
        .value_kind:     global_buffer
      - .actual_access:  read_only
        .address_space:  global
        .offset:         32
        .size:           8
        .value_kind:     global_buffer
      - .offset:         40
        .size:           8
        .value_kind:     by_value
      - .actual_access:  read_only
        .address_space:  global
        .offset:         48
        .size:           8
        .value_kind:     global_buffer
      - .actual_access:  read_only
        .address_space:  global
        .offset:         56
        .size:           8
        .value_kind:     global_buffer
      - .offset:         64
        .size:           4
        .value_kind:     by_value
      - .actual_access:  read_only
        .address_space:  global
        .offset:         72
        .size:           8
        .value_kind:     global_buffer
      - .actual_access:  read_only
        .address_space:  global
        .offset:         80
        .size:           8
        .value_kind:     global_buffer
      - .actual_access:  read_only
        .address_space:  global
        .offset:         88
        .size:           8
        .value_kind:     global_buffer
      - .actual_access:  write_only
        .address_space:  global
        .offset:         96
        .size:           8
        .value_kind:     global_buffer
    .group_segment_fixed_size: 0
    .kernarg_segment_align: 8
    .kernarg_segment_size: 104
    .language:       OpenCL C
    .language_version:
      - 2
      - 0
    .max_flat_workgroup_size: 56
    .name:           fft_rtc_back_len1960_factors_4_7_2_7_5_wgs_56_tpt_56_halfLds_dp_op_CI_CI_sbrr_dirReg
    .private_segment_fixed_size: 160
    .sgpr_count:     45
    .sgpr_spill_count: 0
    .symbol:         fft_rtc_back_len1960_factors_4_7_2_7_5_wgs_56_tpt_56_halfLds_dp_op_CI_CI_sbrr_dirReg.kd
    .uniform_work_group_size: 1
    .uses_dynamic_stack: false
    .vgpr_count:     256
    .vgpr_spill_count: 67
    .wavefront_size: 32
    .workgroup_processor_mode: 1
amdhsa.target:   amdgcn-amd-amdhsa--gfx1201
amdhsa.version:
  - 1
  - 2
...

	.end_amdgpu_metadata
